;; amdgpu-corpus repo=ROCm/rocFFT kind=compiled arch=gfx950 opt=O3
	.text
	.amdgcn_target "amdgcn-amd-amdhsa--gfx950"
	.amdhsa_code_object_version 6
	.protected	fft_rtc_back_len1980_factors_11_2_3_3_5_2_wgs_198_tpt_198_halfLds_dp_op_CI_CI_unitstride_sbrr_dirReg ; -- Begin function fft_rtc_back_len1980_factors_11_2_3_3_5_2_wgs_198_tpt_198_halfLds_dp_op_CI_CI_unitstride_sbrr_dirReg
	.globl	fft_rtc_back_len1980_factors_11_2_3_3_5_2_wgs_198_tpt_198_halfLds_dp_op_CI_CI_unitstride_sbrr_dirReg
	.p2align	8
	.type	fft_rtc_back_len1980_factors_11_2_3_3_5_2_wgs_198_tpt_198_halfLds_dp_op_CI_CI_unitstride_sbrr_dirReg,@function
fft_rtc_back_len1980_factors_11_2_3_3_5_2_wgs_198_tpt_198_halfLds_dp_op_CI_CI_unitstride_sbrr_dirReg: ; @fft_rtc_back_len1980_factors_11_2_3_3_5_2_wgs_198_tpt_198_halfLds_dp_op_CI_CI_unitstride_sbrr_dirReg
; %bb.0:
	s_load_dwordx4 s[4:7], s[0:1], 0x58
	s_load_dwordx4 s[8:11], s[0:1], 0x0
	;; [unrolled: 1-line block ×3, first 2 shown]
	v_mul_u32_u24_e32 v1, 0x14b, v0
	v_add_u32_sdwa v6, s2, v1 dst_sel:DWORD dst_unused:UNUSED_PAD src0_sel:DWORD src1_sel:WORD_1
	v_mov_b32_e32 v2, 0
	s_waitcnt lgkmcnt(0)
	v_cmp_lt_u64_e64 s[2:3], s[10:11], 2
	v_mov_b32_e32 v7, v2
	s_and_b64 vcc, exec, s[2:3]
	v_mov_b64_e32 v[4:5], 0
	s_cbranch_vccnz .LBB0_8
; %bb.1:
	s_load_dwordx2 s[2:3], s[0:1], 0x10
	s_add_u32 s16, s14, 8
	s_addc_u32 s17, s15, 0
	s_add_u32 s18, s12, 8
	s_addc_u32 s19, s13, 0
	s_waitcnt lgkmcnt(0)
	s_add_u32 s20, s2, 8
	v_mov_b64_e32 v[4:5], 0
	s_addc_u32 s21, s3, 0
	s_mov_b64 s[22:23], 1
	v_mov_b64_e32 v[66:67], v[4:5]
.LBB0_2:                                ; =>This Inner Loop Header: Depth=1
	s_load_dwordx2 s[24:25], s[20:21], 0x0
                                        ; implicit-def: $vgpr70_vgpr71
	s_waitcnt lgkmcnt(0)
	v_or_b32_e32 v3, s25, v7
	v_cmp_ne_u64_e32 vcc, 0, v[2:3]
	s_and_saveexec_b64 s[2:3], vcc
	s_xor_b64 s[26:27], exec, s[2:3]
	s_cbranch_execz .LBB0_4
; %bb.3:                                ;   in Loop: Header=BB0_2 Depth=1
	v_cvt_f32_u32_e32 v1, s24
	v_cvt_f32_u32_e32 v3, s25
	s_sub_u32 s2, 0, s24
	s_subb_u32 s3, 0, s25
	v_fmac_f32_e32 v1, 0x4f800000, v3
	v_rcp_f32_e32 v1, v1
	s_nop 0
	v_mul_f32_e32 v1, 0x5f7ffffc, v1
	v_mul_f32_e32 v3, 0x2f800000, v1
	v_trunc_f32_e32 v3, v3
	v_fmac_f32_e32 v1, 0xcf800000, v3
	v_cvt_u32_f32_e32 v3, v3
	v_cvt_u32_f32_e32 v1, v1
	v_mul_lo_u32 v8, s2, v3
	v_mul_hi_u32 v10, s2, v1
	v_mul_lo_u32 v9, s3, v1
	v_add_u32_e32 v10, v10, v8
	v_mul_lo_u32 v12, s2, v1
	v_add_u32_e32 v13, v10, v9
	v_mul_hi_u32 v8, v1, v12
	v_mul_hi_u32 v11, v1, v13
	v_mul_lo_u32 v10, v1, v13
	v_mov_b32_e32 v9, v2
	v_lshl_add_u64 v[8:9], v[8:9], 0, v[10:11]
	v_mul_hi_u32 v11, v3, v12
	v_mul_lo_u32 v12, v3, v12
	v_add_co_u32_e32 v8, vcc, v8, v12
	v_mul_hi_u32 v10, v3, v13
	s_nop 0
	v_addc_co_u32_e32 v8, vcc, v9, v11, vcc
	v_mov_b32_e32 v9, v2
	s_nop 0
	v_addc_co_u32_e32 v11, vcc, 0, v10, vcc
	v_mul_lo_u32 v10, v3, v13
	v_lshl_add_u64 v[8:9], v[8:9], 0, v[10:11]
	v_add_co_u32_e32 v1, vcc, v1, v8
	v_mul_lo_u32 v10, s2, v1
	s_nop 0
	v_addc_co_u32_e32 v3, vcc, v3, v9, vcc
	v_mul_lo_u32 v8, s2, v3
	v_mul_hi_u32 v9, s2, v1
	v_add_u32_e32 v8, v9, v8
	v_mul_lo_u32 v9, s3, v1
	v_add_u32_e32 v12, v8, v9
	v_mul_hi_u32 v14, v3, v10
	v_mul_lo_u32 v15, v3, v10
	v_mul_hi_u32 v9, v1, v12
	v_mul_lo_u32 v8, v1, v12
	v_mul_hi_u32 v10, v1, v10
	v_mov_b32_e32 v11, v2
	v_lshl_add_u64 v[8:9], v[10:11], 0, v[8:9]
	v_add_co_u32_e32 v8, vcc, v8, v15
	v_mul_hi_u32 v13, v3, v12
	s_nop 0
	v_addc_co_u32_e32 v8, vcc, v9, v14, vcc
	v_mul_lo_u32 v10, v3, v12
	s_nop 0
	v_addc_co_u32_e32 v11, vcc, 0, v13, vcc
	v_mov_b32_e32 v9, v2
	v_lshl_add_u64 v[8:9], v[8:9], 0, v[10:11]
	v_add_co_u32_e32 v1, vcc, v1, v8
	v_mul_hi_u32 v10, v6, v1
	s_nop 0
	v_addc_co_u32_e32 v3, vcc, v3, v9, vcc
	v_mad_u64_u32 v[8:9], s[2:3], v6, v3, 0
	v_mov_b32_e32 v11, v2
	v_lshl_add_u64 v[8:9], v[10:11], 0, v[8:9]
	v_mad_u64_u32 v[12:13], s[2:3], v7, v1, 0
	v_add_co_u32_e32 v1, vcc, v8, v12
	v_mad_u64_u32 v[10:11], s[2:3], v7, v3, 0
	s_nop 0
	v_addc_co_u32_e32 v8, vcc, v9, v13, vcc
	v_mov_b32_e32 v9, v2
	s_nop 0
	v_addc_co_u32_e32 v11, vcc, 0, v11, vcc
	v_lshl_add_u64 v[8:9], v[8:9], 0, v[10:11]
	v_mul_lo_u32 v1, s25, v8
	v_mul_lo_u32 v3, s24, v9
	v_mad_u64_u32 v[10:11], s[2:3], s24, v8, 0
	v_add3_u32 v1, v11, v3, v1
	v_sub_u32_e32 v3, v7, v1
	v_mov_b32_e32 v11, s25
	v_sub_co_u32_e32 v14, vcc, v6, v10
	v_lshl_add_u64 v[12:13], v[8:9], 0, 1
	s_nop 0
	v_subb_co_u32_e64 v3, s[2:3], v3, v11, vcc
	v_subrev_co_u32_e64 v10, s[2:3], s24, v14
	v_subb_co_u32_e32 v1, vcc, v7, v1, vcc
	s_nop 0
	v_subbrev_co_u32_e64 v3, s[2:3], 0, v3, s[2:3]
	v_cmp_le_u32_e64 s[2:3], s25, v3
	v_cmp_le_u32_e32 vcc, s25, v1
	s_nop 0
	v_cndmask_b32_e64 v11, 0, -1, s[2:3]
	v_cmp_le_u32_e64 s[2:3], s24, v10
	s_nop 1
	v_cndmask_b32_e64 v10, 0, -1, s[2:3]
	v_cmp_eq_u32_e64 s[2:3], s25, v3
	s_nop 1
	v_cndmask_b32_e64 v3, v11, v10, s[2:3]
	v_lshl_add_u64 v[10:11], v[8:9], 0, 2
	v_cmp_ne_u32_e64 s[2:3], 0, v3
	s_nop 1
	v_cndmask_b32_e64 v3, v13, v11, s[2:3]
	v_cndmask_b32_e64 v11, 0, -1, vcc
	v_cmp_le_u32_e32 vcc, s24, v14
	s_nop 1
	v_cndmask_b32_e64 v13, 0, -1, vcc
	v_cmp_eq_u32_e32 vcc, s25, v1
	s_nop 1
	v_cndmask_b32_e32 v1, v11, v13, vcc
	v_cmp_ne_u32_e32 vcc, 0, v1
	v_cndmask_b32_e64 v1, v12, v10, s[2:3]
	s_nop 0
	v_cndmask_b32_e32 v71, v9, v3, vcc
	v_cndmask_b32_e32 v70, v8, v1, vcc
.LBB0_4:                                ;   in Loop: Header=BB0_2 Depth=1
	s_andn2_saveexec_b64 s[2:3], s[26:27]
	s_cbranch_execz .LBB0_6
; %bb.5:                                ;   in Loop: Header=BB0_2 Depth=1
	v_cvt_f32_u32_e32 v1, s24
	s_sub_i32 s26, 0, s24
	v_mov_b32_e32 v71, v2
	v_rcp_iflag_f32_e32 v1, v1
	s_nop 0
	v_mul_f32_e32 v1, 0x4f7ffffe, v1
	v_cvt_u32_f32_e32 v1, v1
	v_mul_lo_u32 v3, s26, v1
	v_mul_hi_u32 v3, v1, v3
	v_add_u32_e32 v1, v1, v3
	v_mul_hi_u32 v1, v6, v1
	v_mul_lo_u32 v3, v1, s24
	v_sub_u32_e32 v3, v6, v3
	v_add_u32_e32 v8, 1, v1
	v_subrev_u32_e32 v9, s24, v3
	v_cmp_le_u32_e32 vcc, s24, v3
	s_nop 1
	v_cndmask_b32_e32 v3, v3, v9, vcc
	v_cndmask_b32_e32 v1, v1, v8, vcc
	v_add_u32_e32 v8, 1, v1
	v_cmp_le_u32_e32 vcc, s24, v3
	s_nop 1
	v_cndmask_b32_e32 v70, v1, v8, vcc
.LBB0_6:                                ;   in Loop: Header=BB0_2 Depth=1
	s_or_b64 exec, exec, s[2:3]
	v_mad_u64_u32 v[8:9], s[2:3], v70, s24, 0
	s_load_dwordx2 s[2:3], s[18:19], 0x0
	v_mul_lo_u32 v1, v71, s24
	v_mul_lo_u32 v3, v70, s25
	s_load_dwordx2 s[24:25], s[16:17], 0x0
	s_add_u32 s22, s22, 1
	v_add3_u32 v1, v9, v3, v1
	v_sub_co_u32_e32 v3, vcc, v6, v8
	s_addc_u32 s23, s23, 0
	s_nop 0
	v_subb_co_u32_e32 v1, vcc, v7, v1, vcc
	s_add_u32 s16, s16, 8
	s_waitcnt lgkmcnt(0)
	v_mul_lo_u32 v6, s2, v1
	v_mul_lo_u32 v7, s3, v3
	v_mad_u64_u32 v[4:5], s[2:3], s2, v3, v[4:5]
	s_addc_u32 s17, s17, 0
	v_add3_u32 v5, v7, v5, v6
	v_mul_lo_u32 v1, s24, v1
	v_mul_lo_u32 v6, s25, v3
	v_mad_u64_u32 v[66:67], s[2:3], s24, v3, v[66:67]
	s_add_u32 s18, s18, 8
	v_add3_u32 v67, v6, v67, v1
	s_addc_u32 s19, s19, 0
	v_mov_b64_e32 v[6:7], s[10:11]
	s_add_u32 s20, s20, 8
	v_cmp_ge_u64_e32 vcc, s[22:23], v[6:7]
	s_addc_u32 s21, s21, 0
	s_cbranch_vccnz .LBB0_9
; %bb.7:                                ;   in Loop: Header=BB0_2 Depth=1
	v_mov_b64_e32 v[6:7], v[70:71]
	s_branch .LBB0_2
.LBB0_8:
	v_mov_b64_e32 v[66:67], v[4:5]
	v_mov_b64_e32 v[70:71], v[6:7]
.LBB0_9:
	s_load_dwordx2 s[0:1], s[0:1], 0x28
	s_mov_b32 s2, 0x14afd6b
	v_mul_hi_u32 v1, v0, s2
	v_mul_u32_u24_e32 v1, 0xc6, v1
	s_lshl_b64 s[16:17], s[10:11], 3
	v_sub_u32_e32 v68, v0, v1
	s_movk_i32 s2, 0xb4
	s_add_u32 s10, s14, s16
	s_waitcnt lgkmcnt(0)
	v_cmp_gt_u64_e64 s[0:1], s[0:1], v[70:71]
	v_cmp_gt_u32_e64 s[2:3], s2, v68
	s_addc_u32 s11, s15, s17
	s_and_b64 s[18:19], s[0:1], s[2:3]
                                        ; implicit-def: $vgpr52_vgpr53
                                        ; implicit-def: $vgpr38_vgpr39
                                        ; implicit-def: $vgpr34_vgpr35
                                        ; implicit-def: $vgpr30_vgpr31
                                        ; implicit-def: $vgpr26_vgpr27
                                        ; implicit-def: $vgpr22_vgpr23
                                        ; implicit-def: $vgpr18_vgpr19
                                        ; implicit-def: $vgpr14_vgpr15
                                        ; implicit-def: $vgpr10_vgpr11
                                        ; implicit-def: $vgpr6_vgpr7
                                        ; implicit-def: $vgpr2_vgpr3
	s_and_saveexec_b64 s[14:15], s[18:19]
	s_cbranch_execz .LBB0_11
; %bb.10:
	s_add_u32 s12, s12, s16
	s_addc_u32 s13, s13, s17
	s_load_dwordx2 s[12:13], s[12:13], 0x0
	v_mov_b32_e32 v69, 0
	s_waitcnt lgkmcnt(0)
	v_mul_lo_u32 v2, s13, v70
	v_mul_lo_u32 v3, s12, v71
	v_mad_u64_u32 v[0:1], s[12:13], s12, v70, 0
	v_add3_u32 v1, v1, v3, v2
	v_lshl_add_u64 v[0:1], v[0:1], 4, s[4:5]
	v_lshl_add_u64 v[0:1], v[4:5], 4, v[0:1]
	;; [unrolled: 1-line block ×3, first 2 shown]
	s_movk_i32 s4, 0x1000
	v_add_co_u32_e32 v16, vcc, s4, v40
	s_movk_i32 s4, 0x2000
	s_nop 0
	v_addc_co_u32_e32 v17, vcc, 0, v41, vcc
	v_add_co_u32_e32 v24, vcc, s4, v40
	s_movk_i32 s4, 0x3000
	s_nop 0
	v_addc_co_u32_e32 v25, vcc, 0, v41, vcc
	;; [unrolled: 4-line block ×5, first 2 shown]
	v_add_co_u32_e32 v44, vcc, s4, v40
	global_load_dwordx4 v[0:3], v[40:41], off
	global_load_dwordx4 v[4:7], v[40:41], off offset:2880
	v_addc_co_u32_e32 v45, vcc, 0, v41, vcc
	v_add_co_u32_e32 v40, vcc, 0x7000, v40
	global_load_dwordx4 v[8:11], v[16:17], off offset:1664
	global_load_dwordx4 v[12:15], v[24:25], off offset:448
	v_addc_co_u32_e32 v41, vcc, 0, v41, vcc
	global_load_dwordx4 v[16:19], v[24:25], off offset:3328
	global_load_dwordx4 v[20:23], v[26:27], off offset:2112
	s_nop 0
	global_load_dwordx4 v[24:27], v[32:33], off offset:896
	global_load_dwordx4 v[28:31], v[32:33], off offset:3776
	s_nop 0
	global_load_dwordx4 v[32:35], v[42:43], off offset:2560
	global_load_dwordx4 v[36:39], v[44:45], off offset:1344
	;; [unrolled: 1-line block ×3, first 2 shown]
.LBB0_11:
	s_or_b64 exec, exec, s[14:15]
	s_mov_b32 s18, 0xf8bb580b
	s_waitcnt vmcnt(0)
	v_add_f64 v[44:45], v[6:7], -v[52:53]
	s_mov_b32 s4, 0x8764f0ba
	s_mov_b32 s19, 0xbfe14ced
	v_add_f64 v[40:41], v[50:51], v[4:5]
	s_mov_b32 s5, 0x3feaeb8c
	v_mul_f64 v[42:43], v[44:45], s[18:19]
	s_mov_b32 s22, 0x8eee2c13
	v_fma_f64 v[46:47], v[40:41], s[4:5], -v[42:43]
	v_add_f64 v[56:57], v[10:11], -v[38:39]
	s_mov_b32 s12, 0xd9c712b6
	s_mov_b32 s23, 0xbfed1bb4
	v_add_f64 v[54:55], v[0:1], v[46:47]
	v_add_f64 v[46:47], v[36:37], v[8:9]
	s_mov_b32 s13, 0x3fda9628
	v_mul_f64 v[48:49], v[56:57], s[22:23]
	s_mov_b32 s24, 0x43842ef
	v_fma_f64 v[58:59], v[46:47], s[12:13], -v[48:49]
	s_mov_b32 s14, 0x640f44db
	s_mov_b32 s25, 0xbfefac9e
	v_add_f64 v[62:63], v[14:15], -v[34:35]
	v_add_f64 v[60:61], v[58:59], v[54:55]
	v_add_f64 v[54:55], v[32:33], v[12:13]
	s_mov_b32 s15, 0xbfc2375f
	v_mul_f64 v[58:59], v[62:63], s[24:25]
	s_mov_b32 s26, 0xbb3a28a1
	v_fma_f64 v[64:65], v[54:55], s[14:15], -v[58:59]
	s_mov_b32 s16, 0x7f775887
	s_mov_b32 s27, 0xbfe82f19
	v_add_f64 v[74:75], v[18:19], -v[30:31]
	v_add_f64 v[72:73], v[64:65], v[60:61]
	s_mov_b32 s17, 0xbfe4f49e
	v_add_f64 v[60:61], v[28:29], v[16:17]
	v_mul_f64 v[64:65], v[74:75], s[26:27]
	s_mov_b32 s28, 0xfd768dbf
	v_fma_f64 v[76:77], v[60:61], s[16:17], -v[64:65]
	s_mov_b32 s20, 0x9bcd5057
	s_mov_b32 s29, 0xbfd207e7
	v_add_f64 v[80:81], v[22:23], -v[26:27]
	v_add_f64 v[76:77], v[76:77], v[72:73]
	s_mov_b32 s21, 0xbfeeb42a
	v_add_f64 v[72:73], v[24:25], v[20:21]
	v_mul_f64 v[78:79], v[80:81], s[28:29]
	v_fma_f64 v[82:83], v[72:73], s[20:21], -v[78:79]
	v_add_f64 v[76:77], v[82:83], v[76:77]
	s_and_saveexec_b64 s[30:31], s[2:3]
	s_cbranch_execz .LBB0_13
; %bb.12:
	v_mul_f64 v[84:85], v[40:41], s[20:21]
	s_mov_b32 s35, 0x3fd207e7
	s_mov_b32 s34, s28
	v_mul_f64 v[82:83], v[46:47], s[4:5]
	v_fma_f64 v[86:87], s[34:35], v[44:45], v[84:85]
	v_add_f64 v[86:87], v[0:1], v[86:87]
	v_fma_f64 v[88:89], s[18:19], v[56:57], v[82:83]
	v_add_f64 v[86:87], v[88:89], v[86:87]
	s_mov_b32 s39, 0x3fe82f19
	s_mov_b32 s38, s26
	v_mul_f64 v[88:89], v[54:55], s[16:17]
	v_fma_f64 v[90:91], s[38:39], v[62:63], v[88:89]
	s_mov_b32 s41, 0x3fe14ced
	s_mov_b32 s40, s18
	v_fmac_f64_e32 v[84:85], s[28:29], v[44:45]
	v_add_f64 v[86:87], v[90:91], v[86:87]
	v_mul_f64 v[90:91], v[60:61], s[12:13]
	v_fmac_f64_e32 v[82:83], s[40:41], v[56:57]
	v_add_f64 v[84:85], v[0:1], v[84:85]
	v_fma_f64 v[92:93], s[22:23], v[74:75], v[90:91]
	v_add_f64 v[82:83], v[82:83], v[84:85]
	v_fmac_f64_e32 v[88:89], s[26:27], v[62:63]
	s_mov_b32 s43, 0x3fed1bb4
	s_mov_b32 s42, s22
	v_add_f64 v[86:87], v[92:93], v[86:87]
	s_mov_b32 s37, 0x3fefac9e
	s_mov_b32 s36, s24
	v_mul_f64 v[92:93], v[72:73], s[14:15]
	v_add_f64 v[82:83], v[88:89], v[82:83]
	v_fmac_f64_e32 v[90:91], s[42:43], v[74:75]
	v_mul_f64 v[84:85], v[40:41], s[16:17]
	v_fma_f64 v[94:95], s[36:37], v[80:81], v[92:93]
	v_add_f64 v[82:83], v[90:91], v[82:83]
	v_fmac_f64_e32 v[92:93], s[24:25], v[80:81]
	v_fma_f64 v[88:89], s[38:39], v[44:45], v[84:85]
	v_mul_f64 v[90:91], v[46:47], s[14:15]
	v_add_f64 v[82:83], v[92:93], v[82:83]
	v_add_f64 v[88:89], v[0:1], v[88:89]
	v_fma_f64 v[92:93], s[24:25], v[56:57], v[90:91]
	v_add_f64 v[88:89], v[92:93], v[88:89]
	v_mul_f64 v[92:93], v[54:55], s[4:5]
	v_add_f64 v[86:87], v[94:95], v[86:87]
	v_fma_f64 v[94:95], s[40:41], v[62:63], v[92:93]
	v_fmac_f64_e32 v[84:85], s[26:27], v[44:45]
	v_add_f64 v[88:89], v[94:95], v[88:89]
	v_mul_f64 v[94:95], v[60:61], s[20:21]
	v_fmac_f64_e32 v[90:91], s[36:37], v[56:57]
	v_add_f64 v[84:85], v[0:1], v[84:85]
	v_fma_f64 v[96:97], s[34:35], v[74:75], v[94:95]
	v_add_f64 v[84:85], v[90:91], v[84:85]
	v_fmac_f64_e32 v[92:93], s[18:19], v[62:63]
	v_add_f64 v[88:89], v[96:97], v[88:89]
	v_mul_f64 v[96:97], v[72:73], s[12:13]
	v_add_f64 v[84:85], v[92:93], v[84:85]
	v_fmac_f64_e32 v[94:95], s[28:29], v[74:75]
	v_mul_f64 v[90:91], v[40:41], s[14:15]
	v_fma_f64 v[98:99], s[22:23], v[80:81], v[96:97]
	v_add_f64 v[84:85], v[94:95], v[84:85]
	v_fmac_f64_e32 v[96:97], s[42:43], v[80:81]
	v_fma_f64 v[92:93], s[36:37], v[44:45], v[90:91]
	v_mul_f64 v[94:95], v[46:47], s[20:21]
	v_add_f64 v[84:85], v[96:97], v[84:85]
	v_add_f64 v[92:93], v[0:1], v[92:93]
	v_fma_f64 v[96:97], s[28:29], v[56:57], v[94:95]
	v_fmac_f64_e32 v[90:91], s[24:25], v[44:45]
	v_add_f64 v[92:93], v[96:97], v[92:93]
	v_mul_f64 v[96:97], v[54:55], s[12:13]
	v_fmac_f64_e32 v[94:95], s[34:35], v[56:57]
	v_add_f64 v[90:91], v[0:1], v[90:91]
	v_add_f64 v[88:89], v[98:99], v[88:89]
	v_fma_f64 v[98:99], s[22:23], v[62:63], v[96:97]
	v_add_f64 v[90:91], v[94:95], v[90:91]
	v_fmac_f64_e32 v[96:97], s[42:43], v[62:63]
	v_mul_f64 v[94:95], v[40:41], s[12:13]
	v_mul_f64 v[40:41], v[40:41], s[4:5]
	v_add_f64 v[92:93], v[98:99], v[92:93]
	v_mul_f64 v[98:99], v[60:61], s[4:5]
	v_add_f64 v[90:91], v[96:97], v[90:91]
	v_fma_f64 v[96:97], s[42:43], v[44:45], v[94:95]
	v_fmac_f64_e32 v[94:95], s[22:23], v[44:45]
	v_add_f64 v[40:41], v[42:43], v[40:41]
	v_fma_f64 v[100:101], s[40:41], v[74:75], v[98:99]
	v_add_f64 v[96:97], v[0:1], v[96:97]
	v_add_f64 v[44:45], v[0:1], v[94:95]
	v_add_f64 v[40:41], v[0:1], v[40:41]
	v_add_f64 v[0:1], v[4:5], v[0:1]
	v_add_f64 v[92:93], v[100:101], v[92:93]
	v_mul_f64 v[100:101], v[72:73], s[16:17]
	v_fmac_f64_e32 v[98:99], s[18:19], v[74:75]
	v_add_f64 v[0:1], v[8:9], v[0:1]
	v_fma_f64 v[102:103], s[38:39], v[80:81], v[100:101]
	v_add_f64 v[90:91], v[98:99], v[90:91]
	v_fmac_f64_e32 v[100:101], s[26:27], v[80:81]
	v_mul_f64 v[98:99], v[46:47], s[16:17]
	v_add_f64 v[0:1], v[12:13], v[0:1]
	v_add_f64 v[90:91], v[100:101], v[90:91]
	v_fma_f64 v[100:101], s[38:39], v[56:57], v[98:99]
	v_add_f64 v[0:1], v[16:17], v[0:1]
	v_add_f64 v[96:97], v[100:101], v[96:97]
	v_mul_f64 v[100:101], v[54:55], s[20:21]
	v_mul_f64 v[46:47], v[46:47], s[12:13]
	v_add_f64 v[0:1], v[20:21], v[0:1]
	v_add_f64 v[92:93], v[102:103], v[92:93]
	v_fma_f64 v[102:103], s[28:29], v[62:63], v[100:101]
	v_mul_f64 v[54:55], v[54:55], s[14:15]
	v_add_f64 v[46:47], v[48:49], v[46:47]
	v_add_f64 v[0:1], v[24:25], v[0:1]
	;; [unrolled: 1-line block ×3, first 2 shown]
	v_mul_f64 v[102:103], v[60:61], s[14:15]
	v_fmac_f64_e32 v[98:99], s[26:27], v[56:57]
	v_mul_f64 v[56:57], v[60:61], s[16:17]
	v_add_f64 v[54:55], v[58:59], v[54:55]
	v_add_f64 v[40:41], v[46:47], v[40:41]
	;; [unrolled: 1-line block ×3, first 2 shown]
	v_fma_f64 v[104:105], s[24:25], v[74:75], v[102:103]
	v_fmac_f64_e32 v[100:101], s[34:35], v[62:63]
	v_add_f64 v[44:45], v[98:99], v[44:45]
	v_mul_f64 v[60:61], v[72:73], s[20:21]
	v_add_f64 v[56:57], v[64:65], v[56:57]
	v_add_f64 v[40:41], v[54:55], v[40:41]
	;; [unrolled: 1-line block ×4, first 2 shown]
	v_mul_f64 v[104:105], v[72:73], s[4:5]
	v_fmac_f64_e32 v[102:103], s[36:37], v[74:75]
	v_add_f64 v[44:45], v[100:101], v[44:45]
	v_add_f64 v[60:61], v[78:79], v[60:61]
	;; [unrolled: 1-line block ×4, first 2 shown]
	s_movk_i32 s33, 0x58
	v_fma_f64 v[106:107], s[18:19], v[80:81], v[104:105]
	v_fmac_f64_e32 v[104:105], s[40:41], v[80:81]
	v_add_f64 v[44:45], v[102:103], v[44:45]
	v_add_f64 v[40:41], v[60:61], v[40:41]
	;; [unrolled: 1-line block ×3, first 2 shown]
	v_mad_u32_u24 v42, v68, s33, 0
	v_add_f64 v[96:97], v[106:107], v[96:97]
	v_add_f64 v[44:45], v[104:105], v[44:45]
	ds_write2_b64 v42, v[0:1], v[40:41] offset1:1
	ds_write2_b64 v42, v[44:45], v[90:91] offset0:2 offset1:3
	ds_write2_b64 v42, v[84:85], v[82:83] offset0:4 offset1:5
	;; [unrolled: 1-line block ×4, first 2 shown]
	ds_write_b64 v42, v[76:77] offset:80
.LBB0_13:
	s_or_b64 exec, exec, s[30:31]
	v_add_f64 v[84:85], v[4:5], -v[50:51]
	v_add_f64 v[80:81], v[52:53], v[6:7]
	v_mul_f64 v[86:87], v[84:85], s[18:19]
	v_add_f64 v[64:65], v[8:9], -v[36:37]
	v_fma_f64 v[0:1], s[4:5], v[80:81], v[86:87]
	v_add_f64 v[60:61], v[38:39], v[10:11]
	v_mul_f64 v[82:83], v[64:65], s[22:23]
	v_add_f64 v[58:59], v[12:13], -v[32:33]
	v_add_f64 v[0:1], v[2:3], v[0:1]
	v_fma_f64 v[4:5], s[12:13], v[60:61], v[82:83]
	v_add_f64 v[36:37], v[34:35], v[14:15]
	v_mul_f64 v[62:63], v[58:59], s[24:25]
	v_add_f64 v[16:17], v[16:17], -v[28:29]
	v_add_f64 v[0:1], v[4:5], v[0:1]
	v_fma_f64 v[4:5], s[14:15], v[36:37], v[62:63]
	v_add_f64 v[32:33], v[30:31], v[18:19]
	v_mul_f64 v[28:29], v[16:17], s[26:27]
	v_lshl_add_u32 v88, v68, 3, 0
	v_add_u32_e32 v72, 0x18c, v68
	v_add_f64 v[0:1], v[4:5], v[0:1]
	v_fma_f64 v[4:5], s[16:17], v[32:33], v[28:29]
	v_add_f64 v[12:13], v[20:21], -v[24:25]
	v_add_u32_e32 v24, 0x1800, v88
	v_add_u32_e32 v69, 0x2400, v88
	;; [unrolled: 1-line block ×3, first 2 shown]
	v_lshl_add_u32 v89, v72, 3, 0
	v_add_u32_e32 v73, 0x3000, v88
	v_add_f64 v[78:79], v[4:5], v[0:1]
	s_waitcnt lgkmcnt(0)
	s_barrier
	ds_read2_b64 v[54:57], v88 offset1:198
	ds_read2_b64 v[44:47], v24 offset0:24 offset1:222
	ds_read2_b64 v[40:43], v69 offset0:36 offset1:234
	v_lshl_add_u32 v90, v74, 3, 0
	ds_read_b64 v[4:5], v89
	ds_read_b64 v[8:9], v90
	ds_read2_b64 v[48:51], v73 offset0:48 offset1:246
	v_add_f64 v[0:1], v[26:27], v[22:23]
	v_mul_f64 v[20:21], v[12:13], s[28:29]
	v_fma_f64 v[92:93], s[20:21], v[0:1], v[20:21]
	v_add_f64 v[78:79], v[92:93], v[78:79]
	s_waitcnt lgkmcnt(0)
	s_barrier
	s_and_saveexec_b64 s[18:19], s[2:3]
	s_cbranch_execz .LBB0_15
; %bb.14:
	v_add_f64 v[6:7], v[6:7], v[2:3]
	v_add_f64 v[6:7], v[10:11], v[6:7]
	v_add_f64 v[6:7], v[14:15], v[6:7]
	v_add_f64 v[6:7], v[18:19], v[6:7]
	v_add_f64 v[6:7], v[22:23], v[6:7]
	v_add_f64 v[6:7], v[26:27], v[6:7]
	v_mul_f64 v[94:95], v[60:61], s[12:13]
	v_mul_f64 v[98:99], v[32:33], s[16:17]
	v_add_f64 v[6:7], v[30:31], v[6:7]
	s_mov_b32 s12, 0x43842ef
	s_mov_b32 s16, 0xbb3a28a1
	s_mov_b32 s22, 0xfd768dbf
	v_mul_f64 v[92:93], v[80:81], s[4:5]
	v_mul_f64 v[100:101], v[0:1], s[20:21]
	v_add_f64 v[6:7], v[34:35], v[6:7]
	s_mov_b32 s5, 0xbfed1bb4
	s_mov_b32 s4, 0x8eee2c13
	;; [unrolled: 1-line block ×8, first 2 shown]
	v_add_f64 v[6:7], v[38:39], v[6:7]
	v_mul_f64 v[14:15], v[84:85], s[4:5]
	s_mov_b32 s3, 0x3fda9628
	v_mul_f64 v[22:23], v[84:85], s[12:13]
	v_mul_f64 v[30:31], v[84:85], s[16:17]
	s_mov_b32 s21, 0xbfe4f49e
	v_mul_f64 v[38:39], v[84:85], s[22:23]
	s_mov_b32 s25, 0xbfeeb42a
	v_add_f64 v[6:7], v[52:53], v[6:7]
	v_add_f64 v[10:11], v[92:93], -v[86:87]
	v_fma_f64 v[18:19], v[80:81], s[2:3], -v[14:15]
	v_fmac_f64_e32 v[14:15], s[2:3], v[80:81]
	v_fma_f64 v[26:27], v[80:81], s[14:15], -v[22:23]
	v_fmac_f64_e32 v[22:23], s[14:15], v[80:81]
	;; [unrolled: 2-line block ×4, first 2 shown]
	v_add_f64 v[10:11], v[2:3], v[10:11]
	v_add_f64 v[18:19], v[2:3], v[18:19]
	;; [unrolled: 1-line block ×9, first 2 shown]
	v_add_f64 v[38:39], v[94:95], -v[82:83]
	v_add_f64 v[10:11], v[38:39], v[10:11]
	v_mul_f64 v[38:39], v[64:65], s[16:17]
	v_fma_f64 v[80:81], v[60:61], s[20:21], -v[38:39]
	v_fmac_f64_e32 v[38:39], s[20:21], v[60:61]
	s_mov_b32 s27, 0x3fd207e7
	s_mov_b32 s26, s22
	v_add_f64 v[14:15], v[38:39], v[14:15]
	v_mul_f64 v[38:39], v[64:65], s[26:27]
	v_add_f64 v[18:19], v[80:81], v[18:19]
	v_fma_f64 v[80:81], v[60:61], s[24:25], -v[38:39]
	v_fmac_f64_e32 v[38:39], s[24:25], v[60:61]
	s_mov_b32 s29, 0x3fefac9e
	s_mov_b32 s28, s12
	v_add_f64 v[22:23], v[38:39], v[22:23]
	v_mul_f64 v[38:39], v[64:65], s[28:29]
	s_mov_b32 s30, 0xf8bb580b
	v_add_f64 v[26:27], v[80:81], v[26:27]
	v_fma_f64 v[80:81], v[60:61], s[14:15], -v[38:39]
	v_fmac_f64_e32 v[38:39], s[14:15], v[60:61]
	s_mov_b32 s31, 0x3fe14ced
	s_mov_b32 s34, 0x8764f0ba
	v_add_f64 v[30:31], v[38:39], v[30:31]
	v_mul_f64 v[38:39], v[64:65], s[30:31]
	s_mov_b32 s35, 0x3feaeb8c
	v_mul_f64 v[96:97], v[36:37], s[14:15]
	v_fma_f64 v[64:65], v[60:61], s[34:35], -v[38:39]
	v_fmac_f64_e32 v[38:39], s[34:35], v[60:61]
	v_add_f64 v[2:3], v[38:39], v[2:3]
	v_add_f64 v[38:39], v[96:97], -v[62:63]
	v_add_f64 v[10:11], v[38:39], v[10:11]
	v_mul_f64 v[38:39], v[58:59], s[26:27]
	v_fma_f64 v[60:61], v[36:37], s[24:25], -v[38:39]
	v_fmac_f64_e32 v[38:39], s[24:25], v[36:37]
	s_mov_b32 s5, 0x3fed1bb4
	v_add_f64 v[14:15], v[38:39], v[14:15]
	v_mul_f64 v[38:39], v[58:59], s[4:5]
	v_add_f64 v[18:19], v[60:61], v[18:19]
	v_fma_f64 v[60:61], v[36:37], s[2:3], -v[38:39]
	v_fmac_f64_e32 v[38:39], s[2:3], v[36:37]
	s_mov_b32 s27, 0xbfe14ced
	s_mov_b32 s26, s30
	v_add_f64 v[22:23], v[38:39], v[22:23]
	v_mul_f64 v[38:39], v[58:59], s[26:27]
	v_add_f64 v[26:27], v[60:61], v[26:27]
	v_fma_f64 v[60:61], v[36:37], s[34:35], -v[38:39]
	v_fmac_f64_e32 v[38:39], s[34:35], v[36:37]
	v_add_f64 v[28:29], v[98:99], -v[28:29]
	v_add_f64 v[30:31], v[38:39], v[30:31]
	v_mul_f64 v[38:39], v[58:59], s[16:17]
	v_add_f64 v[10:11], v[28:29], v[10:11]
	v_mul_f64 v[28:29], v[16:17], s[28:29]
	v_fma_f64 v[58:59], v[36:37], s[20:21], -v[38:39]
	v_fmac_f64_e32 v[38:39], s[20:21], v[36:37]
	v_fma_f64 v[36:37], v[32:33], s[14:15], -v[28:29]
	v_fmac_f64_e32 v[28:29], s[14:15], v[32:33]
	v_add_f64 v[14:15], v[28:29], v[14:15]
	v_mul_f64 v[28:29], v[16:17], s[26:27]
	v_add_f64 v[18:19], v[36:37], v[18:19]
	v_fma_f64 v[36:37], v[32:33], s[34:35], -v[28:29]
	v_fmac_f64_e32 v[28:29], s[34:35], v[32:33]
	v_add_f64 v[22:23], v[28:29], v[22:23]
	v_mul_f64 v[28:29], v[16:17], s[22:23]
	v_add_f64 v[26:27], v[36:37], v[26:27]
	v_fma_f64 v[36:37], v[32:33], s[24:25], -v[28:29]
	v_fmac_f64_e32 v[28:29], s[24:25], v[32:33]
	v_mul_f64 v[16:17], v[16:17], s[4:5]
	v_add_f64 v[2:3], v[38:39], v[2:3]
	v_add_f64 v[28:29], v[28:29], v[30:31]
	v_fma_f64 v[30:31], v[32:33], s[2:3], -v[16:17]
	v_fmac_f64_e32 v[16:17], s[2:3], v[32:33]
	v_add_f64 v[2:3], v[16:17], v[2:3]
	v_add_f64 v[16:17], v[100:101], -v[20:21]
	v_add_f64 v[10:11], v[16:17], v[10:11]
	v_mul_f64 v[16:17], v[12:13], s[30:31]
	v_fma_f64 v[20:21], v[0:1], s[34:35], -v[16:17]
	v_fmac_f64_e32 v[16:17], s[34:35], v[0:1]
	v_add_f64 v[14:15], v[16:17], v[14:15]
	v_mul_f64 v[16:17], v[12:13], s[16:17]
	v_add_f64 v[18:19], v[20:21], v[18:19]
	v_fma_f64 v[20:21], v[0:1], s[20:21], -v[16:17]
	v_fmac_f64_e32 v[16:17], s[20:21], v[0:1]
	v_add_f64 v[16:17], v[16:17], v[22:23]
	v_mul_f64 v[22:23], v[12:13], s[4:5]
	v_add_f64 v[34:35], v[80:81], v[34:35]
	v_add_f64 v[52:53], v[64:65], v[52:53]
	;; [unrolled: 1-line block ×3, first 2 shown]
	v_fma_f64 v[26:27], v[0:1], s[2:3], -v[22:23]
	v_fmac_f64_e32 v[22:23], s[2:3], v[0:1]
	v_mul_f64 v[12:13], v[12:13], s[12:13]
	v_add_f64 v[34:35], v[60:61], v[34:35]
	v_add_f64 v[52:53], v[58:59], v[52:53]
	v_add_f64 v[22:23], v[22:23], v[28:29]
	v_fma_f64 v[28:29], v[0:1], s[14:15], -v[12:13]
	v_fmac_f64_e32 v[12:13], s[14:15], v[0:1]
	s_movk_i32 s2, 0x50
	v_add_f64 v[34:35], v[36:37], v[34:35]
	v_add_f64 v[30:31], v[30:31], v[52:53]
	;; [unrolled: 1-line block ×3, first 2 shown]
	v_mad_u32_u24 v2, v68, s2, v88
	v_add_f64 v[26:27], v[26:27], v[34:35]
	v_add_f64 v[28:29], v[28:29], v[30:31]
	ds_write2_b64 v2, v[6:7], v[10:11] offset1:1
	ds_write2_b64 v2, v[18:19], v[20:21] offset0:2 offset1:3
	ds_write2_b64 v2, v[26:27], v[28:29] offset0:4 offset1:5
	;; [unrolled: 1-line block ×4, first 2 shown]
	ds_write_b64 v2, v[78:79] offset:80
.LBB0_15:
	s_or_b64 exec, exec, s[18:19]
	s_movk_i32 s4, 0x75
	v_mul_lo_u16_sdwa v0, v68, s4 dst_sel:DWORD dst_unused:UNUSED_PAD src0_sel:BYTE_0 src1_sel:DWORD
	v_sub_u16_sdwa v1, v68, v0 dst_sel:DWORD dst_unused:UNUSED_PAD src0_sel:DWORD src1_sel:BYTE_1
	v_lshrrev_b16_e32 v1, 1, v1
	v_and_b32_e32 v1, 0x7f, v1
	v_add_u16_sdwa v0, v1, v0 dst_sel:DWORD dst_unused:UNUSED_PAD src0_sel:DWORD src1_sel:BYTE_1
	s_mov_b32 s4, 0xba2f
	v_lshrrev_b16_e32 v6, 3, v0
	v_mul_u32_u24_sdwa v0, v72, s4 dst_sel:DWORD dst_unused:UNUSED_PAD src0_sel:WORD_0 src1_sel:DWORD
	v_lshrrev_b32_e32 v7, 19, v0
	v_mul_lo_u16_e32 v0, 11, v7
	v_sub_u16_e32 v10, v72, v0
	v_mul_u32_u24_sdwa v0, v74, s4 dst_sel:DWORD dst_unused:UNUSED_PAD src0_sel:WORD_0 src1_sel:DWORD
	v_lshrrev_b32_e32 v12, 19, v0
	v_mul_lo_u16_e32 v0, 11, v12
	v_add_u32_e32 v52, 0x318, v68
	v_lshlrev_b32_e32 v11, 4, v10
	v_sub_u16_e32 v13, v74, v0
	s_load_dwordx2 s[2:3], s[10:11], 0x0
	s_waitcnt lgkmcnt(0)
	s_barrier
	v_lshlrev_b32_e32 v14, 4, v13
	global_load_dwordx4 v[16:19], v11, s[8:9]
	global_load_dwordx4 v[0:3], v14, s[8:9]
	v_mul_u32_u24_sdwa v11, v52, s4 dst_sel:DWORD dst_unused:UNUSED_PAD src0_sel:WORD_0 src1_sel:DWORD
	v_lshrrev_b32_e32 v11, 19, v11
	v_mul_lo_u16_e32 v14, 11, v11
	v_add_u32_e32 v53, 0xc6, v68
	v_sub_u16_e32 v14, v52, v14
	v_lshlrev_b32_e32 v15, 4, v14
	v_mul_u32_u24_sdwa v26, v53, s4 dst_sel:DWORD dst_unused:UNUSED_PAD src0_sel:WORD_0 src1_sel:DWORD
	global_load_dwordx4 v[20:23], v15, s[8:9]
	v_mul_lo_u16_e32 v15, 11, v6
	v_lshrrev_b32_e32 v75, 19, v26
	v_sub_u16_e32 v15, v68, v15
	v_mov_b32_e32 v25, 4
	v_mul_lo_u16_e32 v26, 11, v75
	v_lshlrev_b32_sdwa v25, v25, v15 dst_sel:DWORD dst_unused:UNUSED_PAD src0_sel:DWORD src1_sel:BYTE_0
	v_sub_u16_e32 v80, v53, v26
	v_lshlrev_b32_e32 v26, 4, v80
	global_load_dwordx4 v[36:39], v25, s[8:9]
	global_load_dwordx4 v[32:35], v26, s[8:9]
	ds_read2_b64 v[28:31], v88 offset1:198
	ds_read2_b64 v[24:27], v24 offset0:24 offset1:222
	ds_read2_b64 v[62:65], v69 offset0:36 offset1:234
	ds_read_b64 v[86:87], v89
	ds_read_b64 v[84:85], v90
	ds_read2_b64 v[58:61], v73 offset0:48 offset1:246
	s_mov_b32 s5, 0x5040100
	s_movk_i32 s4, 0xb0
	v_perm_b32 v7, v12, v7, s5
	v_pk_mul_lo_u16 v7, v7, s4 op_sel_hi:[1,0]
	v_lshlrev_b32_e32 v10, 3, v10
	v_and_b32_e32 v12, 0xfff0, v7
	v_lshrrev_b32_e32 v7, 16, v7
	v_lshlrev_b32_e32 v13, 3, v13
	v_mul_u32_u24_e32 v69, 0xb0, v75
	v_add3_u32 v73, 0, v12, v10
	v_add3_u32 v75, 0, v7, v13
	v_mov_b32_e32 v81, 3
	v_mul_u32_u24_e32 v82, 0xb0, v11
	v_lshlrev_b32_e32 v11, 3, v80
	v_mul_u32_u24_e32 v6, 0xb0, v6
	v_lshlrev_b32_sdwa v7, v81, v15 dst_sel:DWORD dst_unused:UNUSED_PAD src0_sel:DWORD src1_sel:BYTE_0
	v_lshlrev_b32_e32 v83, 3, v14
	v_add3_u32 v69, 0, v69, v11
	v_add3_u32 v91, 0, v6, v7
	;; [unrolled: 1-line block ×3, first 2 shown]
	v_add_u32_e32 v93, 0x1400, v88
	v_add_u32_e32 v94, 0x2800, v88
	s_waitcnt lgkmcnt(0)
	s_barrier
	s_movk_i32 s4, 0x42
	v_cmp_gt_u32_e32 vcc, s4, v68
                                        ; implicit-def: $vgpr82_vgpr83
	s_waitcnt vmcnt(4)
	v_mul_f64 v[6:7], v[64:65], v[18:19]
	s_waitcnt vmcnt(3)
	v_mul_f64 v[10:11], v[58:59], v[2:3]
	v_fmac_f64_e32 v[6:7], v[42:43], v[16:17]
	v_fmac_f64_e32 v[10:11], v[48:49], v[0:1]
	v_add_f64 v[6:7], v[4:5], -v[6:7]
	v_add_f64 v[10:11], v[8:9], -v[10:11]
	v_fma_f64 v[4:5], v[4:5], 2.0, -v[6:7]
	v_fma_f64 v[8:9], v[8:9], 2.0, -v[10:11]
	s_waitcnt vmcnt(2)
	v_mul_f64 v[12:13], v[60:61], v[22:23]
	v_fmac_f64_e32 v[12:13], v[50:51], v[20:21]
	v_add_f64 v[80:81], v[44:45], -v[12:13]
	v_fma_f64 v[12:13], v[44:45], 2.0, -v[80:81]
	s_waitcnt vmcnt(1)
	v_mul_f64 v[14:15], v[26:27], v[38:39]
	s_waitcnt vmcnt(0)
	v_mul_f64 v[44:45], v[62:63], v[34:35]
	v_fmac_f64_e32 v[14:15], v[46:47], v[36:37]
	v_fmac_f64_e32 v[44:45], v[40:41], v[32:33]
	v_add_f64 v[14:15], v[54:55], -v[14:15]
	v_add_f64 v[44:45], v[56:57], -v[44:45]
	v_fma_f64 v[54:55], v[54:55], 2.0, -v[14:15]
	v_fma_f64 v[56:57], v[56:57], 2.0, -v[44:45]
	ds_write2_b64 v91, v[54:55], v[14:15] offset1:11
	ds_write2_b64 v69, v[56:57], v[44:45] offset1:11
	;; [unrolled: 1-line block ×5, first 2 shown]
	s_waitcnt lgkmcnt(0)
	s_barrier
	ds_read2_b64 v[4:7], v88 offset1:198
	ds_read2_b64 v[8:11], v93 offset0:20 offset1:218
	ds_read2_b64 v[12:15], v94 offset0:40 offset1:238
	ds_read_b64 v[54:55], v88 offset:8448
	ds_read_b64 v[44:45], v89
	ds_read_b64 v[56:57], v88 offset:13728
	s_and_saveexec_b64 s[4:5], vcc
	s_cbranch_execz .LBB0_17
; %bb.16:
	ds_read_b64 v[76:77], v88 offset:10032
	ds_read_b64 v[80:81], v90
	ds_read_b64 v[82:83], v88 offset:15312
.LBB0_17:
	s_or_b64 exec, exec, s[4:5]
	v_mul_f64 v[2:3], v[48:49], v[2:3]
	v_mul_f64 v[38:39], v[46:47], v[38:39]
	;; [unrolled: 1-line block ×4, first 2 shown]
	v_fma_f64 v[0:1], v[58:59], v[0:1], -v[2:3]
	v_mul_f64 v[2:3], v[50:51], v[22:23]
	v_fma_f64 v[26:27], v[26:27], v[36:37], -v[38:39]
	v_fma_f64 v[32:33], v[62:63], v[32:33], -v[34:35]
	;; [unrolled: 1-line block ×4, first 2 shown]
	v_add_f64 v[18:19], v[28:29], -v[26:27]
	v_add_f64 v[22:23], v[30:31], -v[32:33]
	;; [unrolled: 1-line block ×4, first 2 shown]
	v_fma_f64 v[20:21], v[28:29], 2.0, -v[18:19]
	v_fma_f64 v[28:29], v[30:31], 2.0, -v[22:23]
	v_fma_f64 v[30:31], v[86:87], 2.0, -v[16:17]
	v_add_f64 v[0:1], v[84:85], -v[0:1]
	v_fma_f64 v[2:3], v[24:25], 2.0, -v[26:27]
	v_fma_f64 v[32:33], v[84:85], 2.0, -v[0:1]
	s_waitcnt lgkmcnt(0)
	s_barrier
	ds_write2_b64 v91, v[20:21], v[18:19] offset1:11
	ds_write2_b64 v69, v[28:29], v[22:23] offset1:11
	;; [unrolled: 1-line block ×5, first 2 shown]
	s_waitcnt lgkmcnt(0)
	s_barrier
	ds_read2_b64 v[0:3], v88 offset1:198
	ds_read2_b64 v[20:23], v93 offset0:20 offset1:218
	ds_read2_b64 v[16:19], v94 offset0:40 offset1:238
	ds_read_b64 v[24:25], v88 offset:8448
	ds_read_b64 v[30:31], v89
	ds_read_b64 v[28:29], v88 offset:13728
                                        ; implicit-def: $vgpr32_vgpr33
	s_and_saveexec_b64 s[4:5], vcc
	s_cbranch_execz .LBB0_19
; %bb.18:
	ds_read_b64 v[78:79], v88 offset:10032
	ds_read_b64 v[26:27], v90
	ds_read_b64 v[32:33], v88 offset:15312
.LBB0_19:
	s_or_b64 exec, exec, s[4:5]
	v_lshrrev_b16_e32 v34, 1, v68
	v_and_b32_e32 v34, 0x7f, v34
	v_mul_lo_u16_e32 v34, 0xbb, v34
	s_mov_b32 s4, 0xba2f
	v_lshrrev_b16_e32 v73, 11, v34
	v_mul_u32_u24_sdwa v34, v53, s4 dst_sel:DWORD dst_unused:UNUSED_PAD src0_sel:WORD_0 src1_sel:DWORD
	v_lshrrev_b32_e32 v75, 20, v34
	v_mul_lo_u16_e32 v34, 22, v75
	v_sub_u16_e32 v91, v53, v34
	v_lshlrev_b32_e32 v43, 5, v91
	global_load_dwordx4 v[34:37], v43, s[8:9] offset:192
	global_load_dwordx4 v[38:41], v43, s[8:9] offset:176
	v_mul_u32_u24_sdwa v43, v72, s4 dst_sel:DWORD dst_unused:UNUSED_PAD src0_sel:WORD_0 src1_sel:DWORD
	v_lshrrev_b32_e32 v116, 20, v43
	v_mul_lo_u16_e32 v43, 22, v116
	v_sub_u16_e32 v117, v72, v43
	v_lshlrev_b32_e32 v43, 5, v117
	global_load_dwordx4 v[92:95], v43, s[8:9] offset:192
	global_load_dwordx4 v[96:99], v43, s[8:9] offset:176
	v_mul_u32_u24_sdwa v43, v74, s4 dst_sel:DWORD dst_unused:UNUSED_PAD src0_sel:WORD_0 src1_sel:DWORD
	v_lshrrev_b32_e32 v69, 20, v43
	v_mul_lo_u16_e32 v43, 22, v69
	v_sub_u16_e32 v118, v74, v43
	v_mul_lo_u16_e32 v42, 22, v73
	v_lshlrev_b32_e32 v43, 5, v118
	global_load_dwordx4 v[100:103], v43, s[8:9] offset:192
	global_load_dwordx4 v[104:107], v43, s[8:9] offset:176
	v_sub_u16_e32 v119, v68, v42
	v_mov_b32_e32 v42, 5
	v_lshlrev_b32_sdwa v42, v42, v119 dst_sel:DWORD dst_unused:UNUSED_PAD src0_sel:DWORD src1_sel:BYTE_0
	global_load_dwordx4 v[108:111], v42, s[8:9] offset:176
	global_load_dwordx4 v[112:115], v42, s[8:9] offset:192
	s_mov_b32 s4, 0xe8584caa
	s_mov_b32 s5, 0xbfebb67a
	;; [unrolled: 1-line block ×4, first 2 shown]
	s_waitcnt lgkmcnt(0)
	s_barrier
	s_waitcnt vmcnt(7)
	v_mul_f64 v[58:59], v[18:19], v[36:37]
	s_waitcnt vmcnt(6)
	v_mul_f64 v[50:51], v[22:23], v[40:41]
	v_mul_f64 v[60:61], v[10:11], v[40:41]
	;; [unrolled: 1-line block ×3, first 2 shown]
	v_fmac_f64_e32 v[50:51], v[10:11], v[38:39]
	v_fmac_f64_e32 v[58:59], v[14:15], v[34:35]
	s_waitcnt vmcnt(5)
	v_mul_f64 v[48:49], v[28:29], v[94:95]
	s_waitcnt vmcnt(4)
	v_mul_f64 v[46:47], v[24:25], v[98:99]
	v_mul_f64 v[86:87], v[54:55], v[98:99]
	;; [unrolled: 1-line block ×3, first 2 shown]
	v_fmac_f64_e32 v[46:47], v[54:55], v[96:97]
	v_fmac_f64_e32 v[48:49], v[56:57], v[92:93]
	v_fma_f64 v[60:61], v[22:23], v[38:39], -v[60:61]
	s_waitcnt vmcnt(3)
	v_mul_f64 v[42:43], v[32:33], v[102:103]
	s_waitcnt vmcnt(2)
	v_mul_f64 v[40:41], v[78:79], v[106:107]
	v_mul_f64 v[98:99], v[76:77], v[106:107]
	;; [unrolled: 1-line block ×3, first 2 shown]
	v_fmac_f64_e32 v[40:41], v[76:77], v[104:105]
	v_fmac_f64_e32 v[42:43], v[82:83], v[100:101]
	s_waitcnt vmcnt(1)
	v_mul_f64 v[64:65], v[20:21], v[110:111]
	v_mul_f64 v[106:107], v[8:9], v[110:111]
	s_waitcnt vmcnt(0)
	v_mul_f64 v[84:85], v[16:17], v[114:115]
	v_mul_f64 v[110:111], v[12:13], v[114:115]
	v_fma_f64 v[62:63], v[18:19], v[34:35], -v[36:37]
	v_fma_f64 v[54:55], v[24:25], v[96:97], -v[86:87]
	;; [unrolled: 1-line block ×5, first 2 shown]
	v_add_f64 v[14:15], v[50:51], v[58:59]
	v_add_f64 v[24:25], v[46:47], v[48:49]
	v_add_f64 v[36:37], v[40:41], v[42:43]
	v_fmac_f64_e32 v[64:65], v[8:9], v[108:109]
	v_fma_f64 v[8:9], v[20:21], v[108:109], -v[106:107]
	v_fmac_f64_e32 v[84:85], v[12:13], v[112:113]
	v_fma_f64 v[20:21], v[16:17], v[112:113], -v[110:111]
	v_add_f64 v[12:13], v[6:7], v[50:51]
	v_add_f64 v[16:17], v[60:61], -v[62:63]
	v_add_f64 v[18:19], v[44:45], v[46:47]
	v_add_f64 v[32:33], v[54:55], -v[28:29]
	v_add_f64 v[34:35], v[80:81], v[40:41]
	v_fmac_f64_e32 v[6:7], -0.5, v[14:15]
	v_fmac_f64_e32 v[44:45], -0.5, v[24:25]
	;; [unrolled: 1-line block ×3, first 2 shown]
	v_add_f64 v[36:37], v[10:11], -v[22:23]
	v_add_f64 v[56:57], v[64:65], v[84:85]
	v_add_f64 v[24:25], v[34:35], v[42:43]
	v_fma_f64 v[34:35], s[4:5], v[16:17], v[6:7]
	v_fmac_f64_e32 v[6:7], s[10:11], v[16:17]
	v_fma_f64 v[16:17], s[4:5], v[32:33], v[44:45]
	v_fmac_f64_e32 v[44:45], s[10:11], v[32:33]
	;; [unrolled: 2-line block ×3, first 2 shown]
	v_mov_b32_e32 v37, 3
	v_add_f64 v[38:39], v[4:5], v[64:65]
	v_add_f64 v[76:77], v[8:9], -v[20:21]
	v_fma_f64 v[4:5], -0.5, v[56:57], v[4:5]
	v_mul_u32_u24_e32 v36, 0x210, v73
	v_lshlrev_b32_sdwa v37, v37, v119 dst_sel:DWORD dst_unused:UNUSED_PAD src0_sel:DWORD src1_sel:BYTE_0
	v_add_f64 v[14:15], v[18:19], v[48:49]
	v_add_f64 v[18:19], v[38:39], v[84:85]
	v_fma_f64 v[38:39], s[4:5], v[76:77], v[4:5]
	v_fmac_f64_e32 v[4:5], s[10:11], v[76:77]
	v_add3_u32 v56, 0, v36, v37
	ds_write2_b64 v56, v[18:19], v[38:39] offset1:22
	ds_write_b64 v56, v[4:5] offset:352
	v_mul_u32_u24_e32 v4, 0x210, v75
	v_lshlrev_b32_e32 v5, 3, v91
	v_add3_u32 v57, 0, v4, v5
	v_mul_u32_u24_e32 v4, 0x210, v116
	v_lshlrev_b32_e32 v5, 3, v117
	v_add_f64 v[12:13], v[12:13], v[58:59]
	v_add3_u32 v73, 0, v4, v5
	ds_write2_b64 v57, v[12:13], v[34:35] offset1:22
	ds_write_b64 v57, v[6:7] offset:352
	ds_write2_b64 v73, v[14:15], v[16:17] offset1:22
	ds_write_b64 v73, v[44:45] offset:352
	v_lshlrev_b32_e32 v44, 3, v118
	s_and_saveexec_b64 s[4:5], vcc
	s_cbranch_execz .LBB0_21
; %bb.20:
	v_mul_lo_u16_e32 v4, 0x42, v69
	v_lshlrev_b32_e32 v4, 3, v4
	v_add3_u32 v4, 0, v44, v4
	ds_write2_b64 v4, v[24:25], v[32:33] offset1:22
	ds_write_b64 v4, v[80:81] offset:352
.LBB0_21:
	s_or_b64 exec, exec, s[4:5]
	v_add_u32_e32 v12, 0x1400, v88
	v_add_u32_e32 v16, 0x2800, v88
	s_waitcnt lgkmcnt(0)
	s_barrier
	ds_read2_b64 v[4:7], v88 offset1:198
	ds_read2_b64 v[12:15], v12 offset0:20 offset1:218
	ds_read2_b64 v[16:19], v16 offset0:40 offset1:238
	ds_read_b64 v[36:37], v88 offset:8448
	ds_read_b64 v[34:35], v89
	ds_read_b64 v[38:39], v88 offset:13728
	s_and_saveexec_b64 s[4:5], vcc
	s_cbranch_execz .LBB0_23
; %bb.22:
	ds_read_b64 v[32:33], v88 offset:10032
	ds_read_b64 v[24:25], v90
	ds_read_b64 v[80:81], v88 offset:15312
.LBB0_23:
	s_or_b64 exec, exec, s[4:5]
	v_add_f64 v[76:77], v[0:1], v[8:9]
	v_add_f64 v[8:9], v[8:9], v[20:21]
	s_mov_b32 s4, 0xe8584caa
	v_fma_f64 v[0:1], -0.5, v[8:9], v[0:1]
	v_add_f64 v[8:9], v[64:65], -v[84:85]
	s_mov_b32 s5, 0x3febb67a
	s_mov_b32 s11, 0xbfebb67a
	;; [unrolled: 1-line block ×3, first 2 shown]
	v_add_f64 v[76:77], v[76:77], v[20:21]
	v_fma_f64 v[20:21], s[4:5], v[8:9], v[0:1]
	v_fmac_f64_e32 v[0:1], s[10:11], v[8:9]
	v_add_f64 v[8:9], v[2:3], v[60:61]
	v_add_f64 v[60:61], v[60:61], v[62:63]
	v_fmac_f64_e32 v[2:3], -0.5, v[60:61]
	v_add_f64 v[50:51], v[50:51], -v[58:59]
	v_fma_f64 v[58:59], s[4:5], v[50:51], v[2:3]
	v_fmac_f64_e32 v[2:3], s[10:11], v[50:51]
	v_add_f64 v[50:51], v[30:31], v[54:55]
	v_add_f64 v[50:51], v[50:51], v[28:29]
	;; [unrolled: 1-line block ×3, first 2 shown]
	v_fmac_f64_e32 v[30:31], -0.5, v[28:29]
	v_add_f64 v[28:29], v[46:47], -v[48:49]
	v_fma_f64 v[46:47], s[4:5], v[28:29], v[30:31]
	v_fmac_f64_e32 v[30:31], s[10:11], v[28:29]
	v_add_f64 v[28:29], v[26:27], v[10:11]
	v_add_f64 v[10:11], v[10:11], v[22:23]
	v_fmac_f64_e32 v[26:27], -0.5, v[10:11]
	v_add_f64 v[10:11], v[40:41], -v[42:43]
	v_add_f64 v[28:29], v[28:29], v[22:23]
	v_fma_f64 v[40:41], s[4:5], v[10:11], v[26:27]
	v_fmac_f64_e32 v[26:27], s[10:11], v[10:11]
	v_add_f64 v[8:9], v[8:9], v[62:63]
	s_waitcnt lgkmcnt(0)
	s_barrier
	ds_write2_b64 v56, v[76:77], v[20:21] offset1:22
	ds_write_b64 v56, v[0:1] offset:352
	ds_write2_b64 v57, v[8:9], v[58:59] offset1:22
	ds_write_b64 v57, v[2:3] offset:352
	;; [unrolled: 2-line block ×3, first 2 shown]
	s_and_saveexec_b64 s[4:5], vcc
	s_cbranch_execz .LBB0_25
; %bb.24:
	v_mul_lo_u16_e32 v0, 0x42, v69
	v_lshlrev_b32_e32 v0, 3, v0
	v_add3_u32 v0, 0, v44, v0
	ds_write2_b64 v0, v[28:29], v[40:41] offset1:22
	ds_write_b64 v0, v[26:27] offset:352
.LBB0_25:
	s_or_b64 exec, exec, s[4:5]
	v_add_u32_e32 v0, 0x1400, v88
	v_add_u32_e32 v20, 0x2800, v88
	s_waitcnt lgkmcnt(0)
	s_barrier
	ds_read2_b64 v[8:11], v88 offset1:198
	ds_read2_b64 v[0:3], v0 offset0:20 offset1:218
	ds_read2_b64 v[20:23], v20 offset0:40 offset1:238
	ds_read_b64 v[42:43], v88 offset:8448
	ds_read_b64 v[30:31], v89
	ds_read_b64 v[44:45], v88 offset:13728
	s_and_saveexec_b64 s[4:5], vcc
	s_cbranch_execz .LBB0_27
; %bb.26:
	ds_read_b64 v[40:41], v88 offset:10032
	ds_read_b64 v[28:29], v90
	ds_read_b64 v[26:27], v88 offset:15312
.LBB0_27:
	s_or_b64 exec, exec, s[4:5]
	s_movk_i32 s4, 0xf9
	v_mul_lo_u16_sdwa v46, v68, s4 dst_sel:DWORD dst_unused:UNUSED_PAD src0_sel:BYTE_0 src1_sel:DWORD
	v_lshrrev_b16_e32 v69, 14, v46
	v_mul_lo_u16_e32 v46, 0x42, v69
	v_sub_u16_e32 v73, v68, v46
	v_mov_b32_e32 v46, 5
	v_lshlrev_b32_sdwa v46, v46, v73 dst_sel:DWORD dst_unused:UNUSED_PAD src0_sel:DWORD src1_sel:BYTE_0
	s_mov_b32 s4, 0xf83f
	global_load_dwordx4 v[76:79], v46, s[8:9] offset:896
	global_load_dwordx4 v[82:85], v46, s[8:9] offset:880
	v_mul_u32_u24_sdwa v46, v53, s4 dst_sel:DWORD dst_unused:UNUSED_PAD src0_sel:WORD_0 src1_sel:DWORD
	v_lshrrev_b32_e32 v75, 22, v46
	v_mul_lo_u16_e32 v46, 0x42, v75
	v_sub_u16_e32 v53, v53, v46
	v_lshlrev_b32_e32 v46, 5, v53
	global_load_dwordx4 v[92:95], v46, s[8:9] offset:896
	global_load_dwordx4 v[96:99], v46, s[8:9] offset:880
	v_mul_u32_u24_sdwa v46, v72, s4 dst_sel:DWORD dst_unused:UNUSED_PAD src0_sel:WORD_0 src1_sel:DWORD
	v_lshrrev_b32_e32 v91, 22, v46
	v_mul_lo_u16_e32 v46, 0x42, v91
	v_sub_u16_e32 v116, v72, v46
	v_lshlrev_b32_e32 v46, 5, v116
	;; [unrolled: 7-line block ×3, first 2 shown]
	global_load_dwordx4 v[108:111], v46, s[8:9] offset:880
	global_load_dwordx4 v[112:115], v46, s[8:9] offset:896
	s_mov_b32 s4, 0xe8584caa
	s_mov_b32 s5, 0xbfebb67a
	;; [unrolled: 1-line block ×4, first 2 shown]
	s_waitcnt lgkmcnt(0)
	s_barrier
	s_waitcnt vmcnt(7)
	v_mul_f64 v[62:63], v[20:21], v[78:79]
	s_waitcnt vmcnt(6)
	v_mul_f64 v[60:61], v[0:1], v[84:85]
	v_mul_f64 v[78:79], v[16:17], v[78:79]
	v_fmac_f64_e32 v[60:61], v[12:13], v[82:83]
	v_fmac_f64_e32 v[62:63], v[16:17], v[76:77]
	v_mul_f64 v[64:65], v[12:13], v[84:85]
	s_waitcnt vmcnt(5)
	v_mul_f64 v[58:59], v[22:23], v[94:95]
	s_waitcnt vmcnt(4)
	v_mul_f64 v[56:57], v[2:3], v[98:99]
	v_fma_f64 v[16:17], v[20:21], v[76:77], -v[78:79]
	v_add_f64 v[20:21], v[60:61], v[62:63]
	v_mul_f64 v[86:87], v[18:19], v[94:95]
	v_fma_f64 v[64:65], v[0:1], v[82:83], -v[64:65]
	s_waitcnt vmcnt(3)
	v_mul_f64 v[54:55], v[44:45], v[102:103]
	v_fmac_f64_e32 v[56:57], v[14:15], v[96:97]
	v_fmac_f64_e32 v[58:59], v[18:19], v[92:93]
	v_add_f64 v[18:19], v[4:5], v[60:61]
	v_fma_f64 v[20:21], -0.5, v[20:21], v[4:5]
	v_mov_b32_e32 v5, 3
	v_mul_f64 v[84:85], v[14:15], v[98:99]
	s_waitcnt vmcnt(2)
	v_mul_f64 v[50:51], v[42:43], v[106:107]
	v_mul_f64 v[94:95], v[36:37], v[106:107]
	;; [unrolled: 1-line block ×3, first 2 shown]
	s_waitcnt vmcnt(0)
	v_mul_f64 v[106:107], v[80:81], v[114:115]
	v_fma_f64 v[14:15], v[22:23], v[92:93], -v[86:87]
	v_fmac_f64_e32 v[54:55], v[38:39], v[100:101]
	v_add_f64 v[22:23], v[64:65], -v[16:17]
	v_add_f64 v[38:39], v[56:57], v[58:59]
	v_mul_u32_u24_e32 v4, 0x630, v69
	v_lshlrev_b32_sdwa v5, v5, v73 dst_sel:DWORD dst_unused:UNUSED_PAD src0_sel:DWORD src1_sel:BYTE_0
	v_mul_f64 v[46:47], v[40:41], v[110:111]
	v_mul_f64 v[102:103], v[32:33], v[110:111]
	;; [unrolled: 1-line block ×3, first 2 shown]
	v_fma_f64 v[12:13], v[2:3], v[96:97], -v[84:85]
	v_fmac_f64_e32 v[50:51], v[36:37], v[104:105]
	v_fma_f64 v[36:37], v[26:27], v[112:113], -v[106:107]
	v_add_f64 v[26:27], v[6:7], v[56:57]
	v_add_f64 v[18:19], v[18:19], v[62:63]
	v_fmac_f64_e32 v[6:7], -0.5, v[38:39]
	v_fma_f64 v[38:39], s[4:5], v[22:23], v[20:21]
	v_add3_u32 v5, 0, v4, v5
	v_fmac_f64_e32 v[46:47], v[32:33], v[108:109]
	v_fma_f64 v[32:33], v[40:41], v[108:109], -v[102:103]
	v_add_f64 v[40:41], v[12:13], -v[14:15]
	v_fmac_f64_e32 v[20:21], s[10:11], v[22:23]
	ds_write2_b64 v5, v[18:19], v[38:39] offset1:66
	ds_write_b64 v5, v[20:21] offset:1056
	v_mul_u32_u24_e32 v4, 0x630, v75
	v_lshlrev_b32_e32 v18, 3, v53
	v_fma_f64 v[0:1], v[42:43], v[104:105], -v[94:95]
	v_fma_f64 v[2:3], v[44:45], v[100:101], -v[98:99]
	v_add_f64 v[44:45], v[50:51], v[54:55]
	v_add_f64 v[26:27], v[26:27], v[58:59]
	v_fma_f64 v[22:23], s[4:5], v[40:41], v[6:7]
	v_fmac_f64_e32 v[6:7], s[10:11], v[40:41]
	v_add3_u32 v39, 0, v4, v18
	v_add_f64 v[42:43], v[34:35], v[50:51]
	v_add_f64 v[76:77], v[0:1], -v[2:3]
	v_fmac_f64_e32 v[34:35], -0.5, v[44:45]
	ds_write2_b64 v39, v[26:27], v[22:23] offset1:66
	ds_write_b64 v39, v[6:7] offset:1056
	v_mul_u32_u24_e32 v4, 0x630, v91
	v_lshlrev_b32_e32 v6, 3, v116
	v_fmac_f64_e32 v[48:49], v[80:81], v[112:113]
	v_add_f64 v[42:43], v[42:43], v[54:55]
	v_fma_f64 v[40:41], s[4:5], v[76:77], v[34:35]
	v_add3_u32 v6, 0, v4, v6
	v_lshl_add_u32 v4, v117, 3, 0
	v_fmac_f64_e32 v[34:35], s[10:11], v[76:77]
	ds_write2_b64 v6, v[42:43], v[40:41] offset1:66
	ds_write_b64 v6, v[34:35] offset:1056
	s_and_saveexec_b64 s[12:13], vcc
	s_cbranch_execz .LBB0_29
; %bb.28:
	v_add_f64 v[20:21], v[46:47], v[48:49]
	v_add_f64 v[18:19], v[32:33], -v[36:37]
	v_fma_f64 v[20:21], -0.5, v[20:21], v[24:25]
	v_fma_f64 v[22:23], s[10:11], v[18:19], v[20:21]
	v_fmac_f64_e32 v[20:21], s[4:5], v[18:19]
	v_add_f64 v[18:19], v[24:25], v[46:47]
	v_add_f64 v[18:19], v[18:19], v[48:49]
	v_add_u32_e32 v7, 0x3400, v4
	ds_write2_b64 v7, v[18:19], v[20:21] offset0:118 offset1:184
	ds_write_b64 v4, v[22:23] offset:15312
.LBB0_29:
	s_or_b64 exec, exec, s[12:13]
	v_add_f64 v[18:19], v[8:9], v[64:65]
	v_add_f64 v[24:25], v[18:19], v[16:17]
	;; [unrolled: 1-line block ×3, first 2 shown]
	v_fma_f64 v[40:41], -0.5, v[16:17], v[8:9]
	v_add_f64 v[8:9], v[60:61], -v[62:63]
	v_fma_f64 v[42:43], s[10:11], v[8:9], v[40:41]
	v_fmac_f64_e32 v[40:41], s[4:5], v[8:9]
	v_add_f64 v[8:9], v[10:11], v[12:13]
	v_add_f64 v[44:45], v[8:9], v[14:15]
	;; [unrolled: 1-line block ×3, first 2 shown]
	v_fmac_f64_e32 v[10:11], -0.5, v[8:9]
	v_add_f64 v[8:9], v[56:57], -v[58:59]
	v_fma_f64 v[56:57], s[10:11], v[8:9], v[10:11]
	v_fmac_f64_e32 v[10:11], s[4:5], v[8:9]
	v_add_f64 v[8:9], v[30:31], v[0:1]
	v_add_f64 v[0:1], v[0:1], v[2:3]
	v_fmac_f64_e32 v[30:31], -0.5, v[0:1]
	v_add_f64 v[0:1], v[50:51], -v[54:55]
	v_add_u32_e32 v34, 0x1200, v88
	v_add_u32_e32 v35, 0x1e00, v88
	;; [unrolled: 1-line block ×3, first 2 shown]
	v_add_f64 v[58:59], v[8:9], v[2:3]
	v_fma_f64 v[50:51], s[10:11], v[0:1], v[30:31]
	v_fmac_f64_e32 v[30:31], s[4:5], v[0:1]
	s_waitcnt lgkmcnt(0)
	s_barrier
	ds_read2_b64 v[0:3], v88 offset1:198
	ds_read2_b64 v[12:15], v34 offset0:18 offset1:216
	ds_read2_b64 v[16:19], v35 offset0:30 offset1:228
	;; [unrolled: 1-line block ×3, first 2 shown]
	ds_read_b64 v[26:27], v89
	ds_read_b64 v[8:9], v88 offset:14256
	s_waitcnt lgkmcnt(0)
	s_barrier
	ds_write2_b64 v5, v[24:25], v[42:43] offset1:66
	ds_write_b64 v5, v[40:41] offset:1056
	ds_write2_b64 v39, v[44:45], v[56:57] offset1:66
	ds_write_b64 v39, v[10:11] offset:1056
	;; [unrolled: 2-line block ×3, first 2 shown]
	s_and_saveexec_b64 s[4:5], vcc
	s_cbranch_execz .LBB0_31
; %bb.30:
	v_add_f64 v[10:11], v[32:33], v[36:37]
	v_add_f64 v[6:7], v[28:29], v[32:33]
	v_fmac_f64_e32 v[28:29], -0.5, v[10:11]
	v_add_f64 v[10:11], v[46:47], -v[48:49]
	s_mov_b32 s10, 0xe8584caa
	v_add_f64 v[6:7], v[6:7], v[36:37]
	v_fma_f64 v[24:25], s[10:11], v[10:11], v[28:29]
	s_mov_b32 s11, 0xbfebb67a
	v_add_u32_e32 v5, 0x3400, v4
	v_fmac_f64_e32 v[28:29], s[10:11], v[10:11]
	ds_write2_b64 v5, v[6:7], v[24:25] offset0:118 offset1:184
	ds_write_b64 v4, v[28:29] offset:15312
.LBB0_31:
	s_or_b64 exec, exec, s[4:5]
	v_lshlrev_b32_e32 v24, 2, v68
	v_mov_b32_e32 v25, 0
	v_lshl_add_u64 v[4:5], v[24:25], 4, s[8:9]
	s_waitcnt lgkmcnt(0)
	s_barrier
	global_load_dwordx4 v[28:31], v[4:5], off offset:2992
	global_load_dwordx4 v[40:43], v[4:5], off offset:3008
	;; [unrolled: 1-line block ×4, first 2 shown]
	ds_read2_b64 v[4:7], v88 offset1:198
	ds_read2_b64 v[54:57], v34 offset0:18 offset1:216
	ds_read2_b64 v[32:35], v35 offset0:30 offset1:228
	ds_read2_b64 v[36:39], v38 offset0:42 offset1:240
	ds_read_b64 v[10:11], v89
	ds_read_b64 v[58:59], v88 offset:14256
	s_mov_b32 s10, 0x134454ff
	s_mov_b32 s11, 0xbfee6f0e
	s_mov_b32 s4, 0x4755a5e
	s_mov_b32 s15, 0x3fee6f0e
	s_mov_b32 s14, s10
	s_mov_b32 s5, 0xbfe2cf23
	s_mov_b32 s12, 0x372fe950
	s_mov_b32 s17, 0x3fe2cf23
	s_mov_b32 s16, s4
	s_mov_b32 s13, 0x3fd3c6ef
	s_waitcnt lgkmcnt(0)
	s_barrier
	v_add_u32_e32 v24, 0x3000, v88
	s_waitcnt vmcnt(3)
	v_mul_f64 v[60:61], v[10:11], v[30:31]
	s_waitcnt vmcnt(2)
	v_mul_f64 v[64:65], v[56:57], v[42:43]
	s_waitcnt vmcnt(1)
	v_mul_f64 v[78:79], v[34:35], v[46:47]
	v_mul_f64 v[62:63], v[26:27], v[30:31]
	s_waitcnt vmcnt(0)
	v_mul_f64 v[82:83], v[38:39], v[50:51]
	v_mul_f64 v[84:85], v[22:23], v[50:51]
	;; [unrolled: 1-line block ×4, first 2 shown]
	v_fmac_f64_e32 v[64:65], v[14:15], v[40:41]
	v_fmac_f64_e32 v[78:79], v[18:19], v[44:45]
	v_mul_f64 v[76:77], v[14:15], v[42:43]
	v_mul_f64 v[80:81], v[18:19], v[46:47]
	;; [unrolled: 1-line block ×6, first 2 shown]
	v_fmac_f64_e32 v[60:61], v[26:27], v[28:29]
	v_fma_f64 v[10:11], v[10:11], v[28:29], -v[62:63]
	v_fmac_f64_e32 v[82:83], v[22:23], v[48:49]
	v_fma_f64 v[22:23], v[38:39], v[48:49], -v[84:85]
	;; [unrolled: 2-line block ×3, first 2 shown]
	v_add_f64 v[28:29], v[64:65], v[78:79]
	v_fma_f64 v[14:15], v[56:57], v[40:41], -v[76:77]
	v_fma_f64 v[18:19], v[34:35], v[44:45], -v[80:81]
	v_fmac_f64_e32 v[92:93], v[16:17], v[40:41]
	v_fma_f64 v[16:17], v[32:33], v[40:41], -v[42:43]
	v_fmac_f64_e32 v[94:95], v[20:21], v[44:45]
	v_fma_f64 v[20:21], v[36:37], v[44:45], -v[46:47]
	v_add_f64 v[30:31], v[10:11], -v[22:23]
	v_add_f64 v[34:35], v[60:61], -v[64:65]
	;; [unrolled: 1-line block ×3, first 2 shown]
	v_add_f64 v[38:39], v[60:61], v[82:83]
	v_add_f64 v[40:41], v[64:65], -v[60:61]
	v_add_f64 v[42:43], v[78:79], -v[82:83]
	v_fma_f64 v[28:29], -0.5, v[28:29], v[0:1]
	v_add_f64 v[26:27], v[0:1], v[60:61]
	v_add_f64 v[32:33], v[14:15], -v[18:19]
	v_add_f64 v[44:45], v[4:5], v[10:11]
	v_add_f64 v[34:35], v[34:35], v[36:37]
	v_fma_f64 v[0:1], -0.5, v[38:39], v[0:1]
	v_add_f64 v[36:37], v[40:41], v[42:43]
	v_fma_f64 v[40:41], s[10:11], v[30:31], v[28:29]
	v_fmac_f64_e32 v[28:29], s[14:15], v[30:31]
	v_add_f64 v[38:39], v[44:45], v[14:15]
	v_fma_f64 v[42:43], s[14:15], v[32:33], v[0:1]
	v_fmac_f64_e32 v[0:1], s[10:11], v[32:33]
	v_fmac_f64_e32 v[40:41], s[4:5], v[32:33]
	;; [unrolled: 1-line block ×3, first 2 shown]
	v_add_f64 v[32:33], v[14:15], v[18:19]
	v_add_f64 v[38:39], v[38:39], v[18:19]
	v_fmac_f64_e32 v[42:43], s[4:5], v[30:31]
	v_fmac_f64_e32 v[0:1], s[16:17], v[30:31]
	;; [unrolled: 1-line block ×4, first 2 shown]
	v_fma_f64 v[32:33], -0.5, v[32:33], v[4:5]
	v_add_f64 v[34:35], v[60:61], -v[82:83]
	v_fmac_f64_e32 v[42:43], s[12:13], v[36:37]
	v_fmac_f64_e32 v[0:1], s[12:13], v[36:37]
	v_add_f64 v[30:31], v[38:39], v[22:23]
	v_fma_f64 v[36:37], s[14:15], v[34:35], v[32:33]
	v_add_f64 v[38:39], v[64:65], -v[78:79]
	v_add_f64 v[44:45], v[10:11], -v[14:15]
	;; [unrolled: 1-line block ×3, first 2 shown]
	v_fmac_f64_e32 v[32:33], s[10:11], v[34:35]
	v_fmac_f64_e32 v[36:37], s[16:17], v[38:39]
	v_add_f64 v[44:45], v[44:45], v[46:47]
	v_fmac_f64_e32 v[32:33], s[4:5], v[38:39]
	v_fmac_f64_e32 v[36:37], s[12:13], v[44:45]
	;; [unrolled: 1-line block ×3, first 2 shown]
	v_add_f64 v[44:45], v[10:11], v[22:23]
	v_mul_f64 v[96:97], v[58:59], v[50:51]
	v_mul_f64 v[50:51], v[8:9], v[50:51]
	v_fma_f64 v[44:45], -0.5, v[44:45], v[4:5]
	v_add_f64 v[4:5], v[14:15], -v[10:11]
	v_add_f64 v[10:11], v[18:19], -v[22:23]
	v_fmac_f64_e32 v[96:97], v[8:9], v[48:49]
	v_fma_f64 v[8:9], v[58:59], v[48:49], -v[50:51]
	v_add_f64 v[4:5], v[4:5], v[10:11]
	v_add_f64 v[10:11], v[92:93], v[94:95]
	v_fma_f64 v[46:47], s[10:11], v[38:39], v[44:45]
	v_fmac_f64_e32 v[44:45], s[14:15], v[38:39]
	v_fma_f64 v[10:11], -0.5, v[10:11], v[2:3]
	v_add_f64 v[14:15], v[12:13], -v[8:9]
	v_fmac_f64_e32 v[46:47], s[16:17], v[34:35]
	v_fmac_f64_e32 v[44:45], s[4:5], v[34:35]
	v_fma_f64 v[18:19], s[10:11], v[14:15], v[10:11]
	v_add_f64 v[22:23], v[16:17], -v[20:21]
	v_add_f64 v[34:35], v[86:87], -v[92:93]
	;; [unrolled: 1-line block ×3, first 2 shown]
	v_fmac_f64_e32 v[10:11], s[14:15], v[14:15]
	v_fmac_f64_e32 v[18:19], s[4:5], v[22:23]
	v_add_f64 v[34:35], v[34:35], v[38:39]
	v_fmac_f64_e32 v[10:11], s[16:17], v[22:23]
	v_fmac_f64_e32 v[18:19], s[12:13], v[34:35]
	v_fmac_f64_e32 v[10:11], s[12:13], v[34:35]
	v_add_f64 v[34:35], v[86:87], v[96:97]
	v_fmac_f64_e32 v[46:47], s[12:13], v[4:5]
	v_fmac_f64_e32 v[44:45], s[12:13], v[4:5]
	v_add_f64 v[4:5], v[2:3], v[86:87]
	v_fmac_f64_e32 v[2:3], -0.5, v[34:35]
	v_fma_f64 v[34:35], s[14:15], v[22:23], v[2:3]
	v_fmac_f64_e32 v[2:3], s[10:11], v[22:23]
	v_fmac_f64_e32 v[34:35], s[4:5], v[14:15]
	;; [unrolled: 1-line block ×3, first 2 shown]
	v_add_f64 v[14:15], v[6:7], v[12:13]
	v_add_f64 v[38:39], v[92:93], -v[86:87]
	v_add_f64 v[48:49], v[94:95], -v[96:97]
	v_add_f64 v[14:15], v[14:15], v[16:17]
	v_add_f64 v[38:39], v[38:39], v[48:49]
	;; [unrolled: 1-line block ×3, first 2 shown]
	v_fmac_f64_e32 v[34:35], s[12:13], v[38:39]
	v_fmac_f64_e32 v[2:3], s[12:13], v[38:39]
	v_add_f64 v[38:39], v[14:15], v[8:9]
	v_add_f64 v[14:15], v[16:17], v[20:21]
	v_fma_f64 v[48:49], -0.5, v[14:15], v[6:7]
	v_add_f64 v[14:15], v[86:87], -v[96:97]
	v_fma_f64 v[50:51], s[14:15], v[14:15], v[48:49]
	v_add_f64 v[22:23], v[92:93], -v[94:95]
	v_add_f64 v[54:55], v[12:13], -v[16:17]
	;; [unrolled: 1-line block ×3, first 2 shown]
	v_fmac_f64_e32 v[48:49], s[10:11], v[14:15]
	v_fmac_f64_e32 v[50:51], s[16:17], v[22:23]
	v_add_f64 v[54:55], v[54:55], v[56:57]
	v_fmac_f64_e32 v[48:49], s[4:5], v[22:23]
	v_add_f64 v[26:27], v[26:27], v[64:65]
	v_fmac_f64_e32 v[50:51], s[12:13], v[54:55]
	v_fmac_f64_e32 v[48:49], s[12:13], v[54:55]
	v_add_f64 v[54:55], v[12:13], v[8:9]
	v_add_f64 v[26:27], v[26:27], v[78:79]
	;; [unrolled: 1-line block ×3, first 2 shown]
	v_fmac_f64_e32 v[6:7], -0.5, v[54:55]
	v_add_f64 v[26:27], v[26:27], v[82:83]
	v_add_f64 v[4:5], v[4:5], v[94:95]
	v_fma_f64 v[54:55], s[10:11], v[22:23], v[6:7]
	v_add_f64 v[12:13], v[16:17], -v[12:13]
	v_add_f64 v[8:9], v[20:21], -v[8:9]
	v_fmac_f64_e32 v[6:7], s[14:15], v[22:23]
	v_add_f64 v[4:5], v[4:5], v[96:97]
	v_fmac_f64_e32 v[54:55], s[16:17], v[14:15]
	v_add_f64 v[8:9], v[12:13], v[8:9]
	v_fmac_f64_e32 v[6:7], s[4:5], v[14:15]
	ds_write2_b64 v88, v[26:27], v[40:41] offset1:198
	v_add_u32_e32 v26, 0xc00, v88
	v_add_u32_e32 v23, 0x1800, v88
	;; [unrolled: 1-line block ×3, first 2 shown]
	v_fmac_f64_e32 v[54:55], s[12:13], v[8:9]
	v_fmac_f64_e32 v[6:7], s[12:13], v[8:9]
	ds_write2_b64 v26, v[42:43], v[0:1] offset0:12 offset1:210
	ds_write2_b64 v23, v[28:29], v[4:5] offset0:24 offset1:222
	ds_write2_b64 v22, v[18:19], v[34:35] offset0:36 offset1:234
	ds_write2_b64 v24, v[2:3], v[10:11] offset0:48 offset1:246
	s_waitcnt lgkmcnt(0)
	s_barrier
	ds_read2_b64 v[0:3], v88 offset1:198
	ds_read2_b64 v[8:11], v23 offset0:24 offset1:222
	ds_read2_b64 v[12:15], v22 offset0:36 offset1:234
	ds_read_b64 v[20:21], v89
	ds_read_b64 v[4:5], v90
	ds_read2_b64 v[16:19], v24 offset0:48 offset1:246
	s_movk_i32 s4, 0x3000
	s_waitcnt lgkmcnt(0)
	s_barrier
	ds_write2_b64 v88, v[30:31], v[36:37] offset1:198
	ds_write2_b64 v26, v[46:47], v[44:45] offset0:12 offset1:210
	ds_write2_b64 v23, v[32:33], v[38:39] offset0:24 offset1:222
	;; [unrolled: 1-line block ×4, first 2 shown]
	s_waitcnt lgkmcnt(0)
	s_barrier
	s_and_saveexec_b64 s[10:11], s[0:1]
	s_cbranch_execz .LBB0_33
; %bb.32:
	v_mov_b32_e32 v53, v25
	v_lshl_add_u64 v[6:7], v[52:53], 4, s[8:9]
	v_add_co_u32_e32 v6, vcc, 0x3000, v6
	v_mov_b32_e32 v75, v25
	s_nop 0
	v_addc_co_u32_e32 v7, vcc, 0, v7, vcc
	v_lshl_add_u64 v[26:27], v[74:75], 4, s[8:9]
	v_add_co_u32_e32 v34, vcc, s4, v26
	v_mov_b32_e32 v73, v25
	s_nop 0
	v_addc_co_u32_e32 v35, vcc, 0, v27, vcc
	global_load_dwordx4 v[26:29], v[6:7], off offset:3376
	global_load_dwordx4 v[30:33], v[34:35], off offset:3376
	v_lshl_add_u64 v[6:7], v[72:73], 4, s[8:9]
	v_add_co_u32_e32 v6, vcc, s4, v6
	v_mov_b32_e32 v69, v25
	s_nop 0
	v_addc_co_u32_e32 v7, vcc, 0, v7, vcc
	v_lshlrev_b64 v[50:51], 4, v[68:69]
	global_load_dwordx4 v[34:37], v[6:7], off offset:3376
	v_lshl_add_u64 v[6:7], s[8:9], 0, v[50:51]
	s_movk_i32 s5, 0x4000
	v_add_co_u32_e32 v38, vcc, s5, v6
	v_mul_lo_u32 v53, s3, v70
	s_nop 0
	v_addc_co_u32_e32 v39, vcc, 0, v7, vcc
	v_add_co_u32_e32 v6, vcc, s4, v6
	global_load_dwordx4 v[38:41], v[38:39], off offset:2448
	s_nop 0
	v_addc_co_u32_e32 v7, vcc, 0, v7, vcc
	global_load_dwordx4 v[42:45], v[6:7], off offset:3376
	v_mul_lo_u32 v69, s2, v71
	v_mad_u64_u32 v[6:7], s[0:1], s2, v70, 0
	ds_read2_b64 v[46:49], v23 offset0:24 offset1:222
	ds_read2_b64 v[54:57], v24 offset0:48 offset1:246
	ds_read_b64 v[70:71], v90
	ds_read_b64 v[72:73], v89
	ds_read2_b64 v[58:61], v22 offset0:36 offset1:234
	ds_read2_b64 v[62:65], v88 offset1:198
	v_add3_u32 v7, v7, v69, v53
	v_lshl_add_u64 v[74:75], v[6:7], 4, s[6:7]
	s_mov_b32 s0, 0x21195767
	s_movk_i32 s1, 0x3de
	s_waitcnt vmcnt(3)
	v_mul_f64 v[76:77], v[16:17], v[32:33]
	s_waitcnt lgkmcnt(4)
	v_mul_f64 v[32:33], v[54:55], v[32:33]
	v_fmac_f64_e32 v[32:33], v[16:17], v[30:31]
	s_waitcnt vmcnt(2)
	v_mul_f64 v[6:7], v[14:15], v[36:37]
	s_waitcnt lgkmcnt(1)
	v_mul_f64 v[22:23], v[60:61], v[36:37]
	v_mul_f64 v[36:37], v[18:19], v[28:29]
	;; [unrolled: 1-line block ×3, first 2 shown]
	v_fma_f64 v[6:7], v[60:61], v[34:35], -v[6:7]
	v_fmac_f64_e32 v[22:23], v[14:15], v[34:35]
	v_fmac_f64_e32 v[28:29], v[18:19], v[26:27]
	v_fma_f64 v[36:37], v[56:57], v[26:27], -v[36:37]
	v_add_f64 v[16:17], v[72:73], -v[6:7]
	v_fma_f64 v[18:19], v[54:55], v[30:31], -v[76:77]
	s_waitcnt vmcnt(1)
	v_mul_f64 v[34:35], v[12:13], v[40:41]
	v_mul_f64 v[40:41], v[58:59], v[40:41]
	v_fma_f64 v[6:7], v[58:59], v[38:39], -v[34:35]
	s_waitcnt vmcnt(0)
	v_mul_f64 v[60:61], v[10:11], v[44:45]
	v_mul_f64 v[44:45], v[48:49], v[44:45]
	v_fmac_f64_e32 v[40:41], v[12:13], v[38:39]
	v_fma_f64 v[34:35], v[48:49], v[42:43], -v[60:61]
	v_fmac_f64_e32 v[44:45], v[10:11], v[42:43]
	v_add_f64 v[10:11], v[8:9], -v[28:29]
	v_add_f64 v[12:13], v[46:47], -v[36:37]
	;; [unrolled: 1-line block ×3, first 2 shown]
	s_waitcnt lgkmcnt(0)
	v_add_f64 v[36:37], v[62:63], -v[34:35]
	v_add_f64 v[34:35], v[0:1], -v[44:45]
	v_fma_f64 v[38:39], v[8:9], 2.0, -v[10:11]
	v_lshl_add_u64 v[8:9], v[66:67], 4, v[74:75]
	v_add_f64 v[28:29], v[70:71], -v[18:19]
	v_fma_f64 v[42:43], v[2:3], 2.0, -v[30:31]
	v_fma_f64 v[2:3], v[62:63], 2.0, -v[36:37]
	v_fma_f64 v[0:1], v[0:1], 2.0, -v[34:35]
	v_lshl_add_u64 v[18:19], v[8:9], 0, v[50:51]
	global_store_dwordx4 v[18:19], v[0:3], off
	v_add_f64 v[26:27], v[4:5], -v[32:33]
	v_add_f64 v[32:33], v[64:65], -v[6:7]
	v_add_co_u32_e32 v0, vcc, s4, v18
	v_fma_f64 v[44:45], v[64:65], 2.0, -v[32:33]
	s_nop 0
	v_addc_co_u32_e32 v1, vcc, 0, v19, vcc
	global_store_dwordx4 v[0:1], v[34:37], off offset:3552
	global_store_dwordx4 v[18:19], v[42:45], off offset:3168
	v_add_co_u32_e32 v0, vcc, s5, v18
	v_add_f64 v[14:15], v[20:21], -v[22:23]
	s_nop 0
	v_addc_co_u32_e32 v1, vcc, 0, v19, vcc
	global_store_dwordx4 v[0:1], v[30:33], off offset:2624
	v_add_u32_e32 v0, 0x18c, v68
	v_mul_hi_u32 v1, v0, s0
	v_lshrrev_b32_e32 v1, 7, v1
	v_mad_u32_u24 v24, v1, s1, v0
	v_fma_f64 v[22:23], v[72:73], 2.0, -v[16:17]
	v_fma_f64 v[20:21], v[20:21], 2.0, -v[14:15]
	v_lshl_add_u64 v[0:1], v[24:25], 4, v[8:9]
	global_store_dwordx4 v[0:1], v[20:23], off
	v_add_co_u32_e32 v0, vcc, s4, v0
	v_fma_f64 v[6:7], v[70:71], 2.0, -v[28:29]
	s_nop 0
	v_addc_co_u32_e32 v1, vcc, 0, v1, vcc
	global_store_dwordx4 v[0:1], v[14:17], off offset:3552
	v_add_u32_e32 v0, 0x252, v68
	v_mul_hi_u32 v1, v0, s0
	v_lshrrev_b32_e32 v1, 7, v1
	v_mad_u32_u24 v24, v1, s1, v0
	v_fma_f64 v[4:5], v[4:5], 2.0, -v[26:27]
	v_lshl_add_u64 v[0:1], v[24:25], 4, v[8:9]
	global_store_dwordx4 v[0:1], v[4:7], off
	v_add_co_u32_e32 v0, vcc, s4, v0
	v_fma_f64 v[40:41], v[46:47], 2.0, -v[12:13]
	s_nop 0
	v_addc_co_u32_e32 v1, vcc, 0, v1, vcc
	global_store_dwordx4 v[0:1], v[26:29], off offset:3552
	v_mul_hi_u32 v0, v52, s0
	v_lshrrev_b32_e32 v0, 7, v0
	v_mad_u32_u24 v24, v0, s1, v52
	v_lshl_add_u64 v[0:1], v[24:25], 4, v[8:9]
	global_store_dwordx4 v[0:1], v[38:41], off
	v_add_co_u32_e32 v0, vcc, 0x3000, v0
	s_nop 1
	v_addc_co_u32_e32 v1, vcc, 0, v1, vcc
	global_store_dwordx4 v[0:1], v[10:13], off offset:3552
.LBB0_33:
	s_endpgm
	.section	.rodata,"a",@progbits
	.p2align	6, 0x0
	.amdhsa_kernel fft_rtc_back_len1980_factors_11_2_3_3_5_2_wgs_198_tpt_198_halfLds_dp_op_CI_CI_unitstride_sbrr_dirReg
		.amdhsa_group_segment_fixed_size 0
		.amdhsa_private_segment_fixed_size 0
		.amdhsa_kernarg_size 104
		.amdhsa_user_sgpr_count 2
		.amdhsa_user_sgpr_dispatch_ptr 0
		.amdhsa_user_sgpr_queue_ptr 0
		.amdhsa_user_sgpr_kernarg_segment_ptr 1
		.amdhsa_user_sgpr_dispatch_id 0
		.amdhsa_user_sgpr_kernarg_preload_length 0
		.amdhsa_user_sgpr_kernarg_preload_offset 0
		.amdhsa_user_sgpr_private_segment_size 0
		.amdhsa_uses_dynamic_stack 0
		.amdhsa_enable_private_segment 0
		.amdhsa_system_sgpr_workgroup_id_x 1
		.amdhsa_system_sgpr_workgroup_id_y 0
		.amdhsa_system_sgpr_workgroup_id_z 0
		.amdhsa_system_sgpr_workgroup_info 0
		.amdhsa_system_vgpr_workitem_id 0
		.amdhsa_next_free_vgpr 120
		.amdhsa_next_free_sgpr 44
		.amdhsa_accum_offset 120
		.amdhsa_reserve_vcc 1
		.amdhsa_float_round_mode_32 0
		.amdhsa_float_round_mode_16_64 0
		.amdhsa_float_denorm_mode_32 3
		.amdhsa_float_denorm_mode_16_64 3
		.amdhsa_dx10_clamp 1
		.amdhsa_ieee_mode 1
		.amdhsa_fp16_overflow 0
		.amdhsa_tg_split 0
		.amdhsa_exception_fp_ieee_invalid_op 0
		.amdhsa_exception_fp_denorm_src 0
		.amdhsa_exception_fp_ieee_div_zero 0
		.amdhsa_exception_fp_ieee_overflow 0
		.amdhsa_exception_fp_ieee_underflow 0
		.amdhsa_exception_fp_ieee_inexact 0
		.amdhsa_exception_int_div_zero 0
	.end_amdhsa_kernel
	.text
.Lfunc_end0:
	.size	fft_rtc_back_len1980_factors_11_2_3_3_5_2_wgs_198_tpt_198_halfLds_dp_op_CI_CI_unitstride_sbrr_dirReg, .Lfunc_end0-fft_rtc_back_len1980_factors_11_2_3_3_5_2_wgs_198_tpt_198_halfLds_dp_op_CI_CI_unitstride_sbrr_dirReg
                                        ; -- End function
	.section	.AMDGPU.csdata,"",@progbits
; Kernel info:
; codeLenInByte = 10308
; NumSgprs: 50
; NumVgprs: 120
; NumAgprs: 0
; TotalNumVgprs: 120
; ScratchSize: 0
; MemoryBound: 1
; FloatMode: 240
; IeeeMode: 1
; LDSByteSize: 0 bytes/workgroup (compile time only)
; SGPRBlocks: 6
; VGPRBlocks: 14
; NumSGPRsForWavesPerEU: 50
; NumVGPRsForWavesPerEU: 120
; AccumOffset: 120
; Occupancy: 4
; WaveLimiterHint : 1
; COMPUTE_PGM_RSRC2:SCRATCH_EN: 0
; COMPUTE_PGM_RSRC2:USER_SGPR: 2
; COMPUTE_PGM_RSRC2:TRAP_HANDLER: 0
; COMPUTE_PGM_RSRC2:TGID_X_EN: 1
; COMPUTE_PGM_RSRC2:TGID_Y_EN: 0
; COMPUTE_PGM_RSRC2:TGID_Z_EN: 0
; COMPUTE_PGM_RSRC2:TIDIG_COMP_CNT: 0
; COMPUTE_PGM_RSRC3_GFX90A:ACCUM_OFFSET: 29
; COMPUTE_PGM_RSRC3_GFX90A:TG_SPLIT: 0
	.text
	.p2alignl 6, 3212836864
	.fill 256, 4, 3212836864
	.type	__hip_cuid_934314d4aeedd39a,@object ; @__hip_cuid_934314d4aeedd39a
	.section	.bss,"aw",@nobits
	.globl	__hip_cuid_934314d4aeedd39a
__hip_cuid_934314d4aeedd39a:
	.byte	0                               ; 0x0
	.size	__hip_cuid_934314d4aeedd39a, 1

	.ident	"AMD clang version 19.0.0git (https://github.com/RadeonOpenCompute/llvm-project roc-6.4.0 25133 c7fe45cf4b819c5991fe208aaa96edf142730f1d)"
	.section	".note.GNU-stack","",@progbits
	.addrsig
	.addrsig_sym __hip_cuid_934314d4aeedd39a
	.amdgpu_metadata
---
amdhsa.kernels:
  - .agpr_count:     0
    .args:
      - .actual_access:  read_only
        .address_space:  global
        .offset:         0
        .size:           8
        .value_kind:     global_buffer
      - .offset:         8
        .size:           8
        .value_kind:     by_value
      - .actual_access:  read_only
        .address_space:  global
        .offset:         16
        .size:           8
        .value_kind:     global_buffer
      - .actual_access:  read_only
        .address_space:  global
        .offset:         24
        .size:           8
        .value_kind:     global_buffer
      - .actual_access:  read_only
        .address_space:  global
        .offset:         32
        .size:           8
        .value_kind:     global_buffer
      - .offset:         40
        .size:           8
        .value_kind:     by_value
      - .actual_access:  read_only
        .address_space:  global
        .offset:         48
        .size:           8
        .value_kind:     global_buffer
      - .actual_access:  read_only
        .address_space:  global
        .offset:         56
        .size:           8
        .value_kind:     global_buffer
      - .offset:         64
        .size:           4
        .value_kind:     by_value
      - .actual_access:  read_only
        .address_space:  global
        .offset:         72
        .size:           8
        .value_kind:     global_buffer
      - .actual_access:  read_only
        .address_space:  global
        .offset:         80
        .size:           8
        .value_kind:     global_buffer
      - .actual_access:  read_only
        .address_space:  global
        .offset:         88
        .size:           8
        .value_kind:     global_buffer
      - .actual_access:  write_only
        .address_space:  global
        .offset:         96
        .size:           8
        .value_kind:     global_buffer
    .group_segment_fixed_size: 0
    .kernarg_segment_align: 8
    .kernarg_segment_size: 104
    .language:       OpenCL C
    .language_version:
      - 2
      - 0
    .max_flat_workgroup_size: 198
    .name:           fft_rtc_back_len1980_factors_11_2_3_3_5_2_wgs_198_tpt_198_halfLds_dp_op_CI_CI_unitstride_sbrr_dirReg
    .private_segment_fixed_size: 0
    .sgpr_count:     50
    .sgpr_spill_count: 0
    .symbol:         fft_rtc_back_len1980_factors_11_2_3_3_5_2_wgs_198_tpt_198_halfLds_dp_op_CI_CI_unitstride_sbrr_dirReg.kd
    .uniform_work_group_size: 1
    .uses_dynamic_stack: false
    .vgpr_count:     120
    .vgpr_spill_count: 0
    .wavefront_size: 64
amdhsa.target:   amdgcn-amd-amdhsa--gfx950
amdhsa.version:
  - 1
  - 2
...

	.end_amdgpu_metadata
